;; amdgpu-corpus repo=ROCm/rocFFT kind=compiled arch=gfx1030 opt=O3
	.text
	.amdgcn_target "amdgcn-amd-amdhsa--gfx1030"
	.amdhsa_code_object_version 6
	.protected	fft_rtc_fwd_len1768_factors_17_13_8_wgs_136_tpt_136_halfLds_half_op_CI_CI_sbrr_dirReg ; -- Begin function fft_rtc_fwd_len1768_factors_17_13_8_wgs_136_tpt_136_halfLds_half_op_CI_CI_sbrr_dirReg
	.globl	fft_rtc_fwd_len1768_factors_17_13_8_wgs_136_tpt_136_halfLds_half_op_CI_CI_sbrr_dirReg
	.p2align	8
	.type	fft_rtc_fwd_len1768_factors_17_13_8_wgs_136_tpt_136_halfLds_half_op_CI_CI_sbrr_dirReg,@function
fft_rtc_fwd_len1768_factors_17_13_8_wgs_136_tpt_136_halfLds_half_op_CI_CI_sbrr_dirReg: ; @fft_rtc_fwd_len1768_factors_17_13_8_wgs_136_tpt_136_halfLds_half_op_CI_CI_sbrr_dirReg
; %bb.0:
	s_clause 0x2
	s_load_dwordx4 s[16:19], s[4:5], 0x18
	s_load_dwordx4 s[8:11], s[4:5], 0x0
	;; [unrolled: 1-line block ×3, first 2 shown]
	v_mul_u32_u24_e32 v1, 0x1e2, v0
	v_mov_b32_e32 v3, 0
	s_waitcnt lgkmcnt(0)
	s_load_dwordx2 s[20:21], s[16:17], 0x0
	s_load_dwordx2 s[2:3], s[18:19], 0x0
	v_cmp_lt_u64_e64 s0, s[10:11], 2
	v_add_nc_u32_sdwa v5, s6, v1 dst_sel:DWORD dst_unused:UNUSED_PAD src0_sel:DWORD src1_sel:WORD_1
	v_mov_b32_e32 v1, 0
	v_mov_b32_e32 v6, v3
	;; [unrolled: 1-line block ×3, first 2 shown]
	s_and_b32 vcc_lo, exec_lo, s0
	s_cbranch_vccnz .LBB0_8
; %bb.1:
	s_load_dwordx2 s[0:1], s[4:5], 0x10
	v_mov_b32_e32 v1, 0
	v_mov_b32_e32 v2, 0
	s_add_u32 s6, s18, 8
	s_addc_u32 s7, s19, 0
	s_add_u32 s22, s16, 8
	s_addc_u32 s23, s17, 0
	v_mov_b32_e32 v8, v2
	v_mov_b32_e32 v7, v1
	s_mov_b64 s[26:27], 1
	s_waitcnt lgkmcnt(0)
	s_add_u32 s24, s0, 8
	s_addc_u32 s25, s1, 0
.LBB0_2:                                ; =>This Inner Loop Header: Depth=1
	s_load_dwordx2 s[28:29], s[24:25], 0x0
                                        ; implicit-def: $vgpr9_vgpr10
	s_mov_b32 s0, exec_lo
	s_waitcnt lgkmcnt(0)
	v_or_b32_e32 v4, s29, v6
	v_cmpx_ne_u64_e32 0, v[3:4]
	s_xor_b32 s1, exec_lo, s0
	s_cbranch_execz .LBB0_4
; %bb.3:                                ;   in Loop: Header=BB0_2 Depth=1
	v_cvt_f32_u32_e32 v4, s28
	v_cvt_f32_u32_e32 v9, s29
	s_sub_u32 s0, 0, s28
	s_subb_u32 s30, 0, s29
	v_fmac_f32_e32 v4, 0x4f800000, v9
	v_rcp_f32_e32 v4, v4
	v_mul_f32_e32 v4, 0x5f7ffffc, v4
	v_mul_f32_e32 v9, 0x2f800000, v4
	v_trunc_f32_e32 v9, v9
	v_fmac_f32_e32 v4, 0xcf800000, v9
	v_cvt_u32_f32_e32 v9, v9
	v_cvt_u32_f32_e32 v4, v4
	v_mul_lo_u32 v10, s0, v9
	v_mul_hi_u32 v11, s0, v4
	v_mul_lo_u32 v12, s30, v4
	v_add_nc_u32_e32 v10, v11, v10
	v_mul_lo_u32 v11, s0, v4
	v_add_nc_u32_e32 v10, v10, v12
	v_mul_hi_u32 v12, v4, v11
	v_mul_lo_u32 v13, v4, v10
	v_mul_hi_u32 v14, v4, v10
	v_mul_hi_u32 v15, v9, v11
	v_mul_lo_u32 v11, v9, v11
	v_mul_hi_u32 v16, v9, v10
	v_mul_lo_u32 v10, v9, v10
	v_add_co_u32 v12, vcc_lo, v12, v13
	v_add_co_ci_u32_e32 v13, vcc_lo, 0, v14, vcc_lo
	v_add_co_u32 v11, vcc_lo, v12, v11
	v_add_co_ci_u32_e32 v11, vcc_lo, v13, v15, vcc_lo
	v_add_co_ci_u32_e32 v12, vcc_lo, 0, v16, vcc_lo
	v_add_co_u32 v10, vcc_lo, v11, v10
	v_add_co_ci_u32_e32 v11, vcc_lo, 0, v12, vcc_lo
	v_add_co_u32 v4, vcc_lo, v4, v10
	v_add_co_ci_u32_e32 v9, vcc_lo, v9, v11, vcc_lo
	v_mul_hi_u32 v10, s0, v4
	v_mul_lo_u32 v12, s30, v4
	v_mul_lo_u32 v11, s0, v9
	v_add_nc_u32_e32 v10, v10, v11
	v_mul_lo_u32 v11, s0, v4
	v_add_nc_u32_e32 v10, v10, v12
	v_mul_hi_u32 v12, v4, v11
	v_mul_lo_u32 v13, v4, v10
	v_mul_hi_u32 v14, v4, v10
	v_mul_hi_u32 v15, v9, v11
	v_mul_lo_u32 v11, v9, v11
	v_mul_hi_u32 v16, v9, v10
	v_mul_lo_u32 v10, v9, v10
	v_add_co_u32 v12, vcc_lo, v12, v13
	v_add_co_ci_u32_e32 v13, vcc_lo, 0, v14, vcc_lo
	v_add_co_u32 v11, vcc_lo, v12, v11
	v_add_co_ci_u32_e32 v11, vcc_lo, v13, v15, vcc_lo
	v_add_co_ci_u32_e32 v12, vcc_lo, 0, v16, vcc_lo
	v_add_co_u32 v10, vcc_lo, v11, v10
	v_add_co_ci_u32_e32 v11, vcc_lo, 0, v12, vcc_lo
	v_add_co_u32 v4, vcc_lo, v4, v10
	v_add_co_ci_u32_e32 v13, vcc_lo, v9, v11, vcc_lo
	v_mul_hi_u32 v15, v5, v4
	v_mad_u64_u32 v[11:12], null, v6, v4, 0
	v_mad_u64_u32 v[9:10], null, v5, v13, 0
	v_mad_u64_u32 v[13:14], null, v6, v13, 0
	v_add_co_u32 v4, vcc_lo, v15, v9
	v_add_co_ci_u32_e32 v9, vcc_lo, 0, v10, vcc_lo
	v_add_co_u32 v4, vcc_lo, v4, v11
	v_add_co_ci_u32_e32 v4, vcc_lo, v9, v12, vcc_lo
	v_add_co_ci_u32_e32 v9, vcc_lo, 0, v14, vcc_lo
	v_add_co_u32 v4, vcc_lo, v4, v13
	v_add_co_ci_u32_e32 v11, vcc_lo, 0, v9, vcc_lo
	v_mul_lo_u32 v12, s29, v4
	v_mad_u64_u32 v[9:10], null, s28, v4, 0
	v_mul_lo_u32 v13, s28, v11
	v_sub_co_u32 v9, vcc_lo, v5, v9
	v_add3_u32 v10, v10, v13, v12
	v_sub_nc_u32_e32 v12, v6, v10
	v_subrev_co_ci_u32_e64 v12, s0, s29, v12, vcc_lo
	v_add_co_u32 v13, s0, v4, 2
	v_add_co_ci_u32_e64 v14, s0, 0, v11, s0
	v_sub_co_u32 v15, s0, v9, s28
	v_sub_co_ci_u32_e32 v10, vcc_lo, v6, v10, vcc_lo
	v_subrev_co_ci_u32_e64 v12, s0, 0, v12, s0
	v_cmp_le_u32_e32 vcc_lo, s28, v15
	v_cmp_eq_u32_e64 s0, s29, v10
	v_cndmask_b32_e64 v15, 0, -1, vcc_lo
	v_cmp_le_u32_e32 vcc_lo, s29, v12
	v_cndmask_b32_e64 v16, 0, -1, vcc_lo
	v_cmp_le_u32_e32 vcc_lo, s28, v9
	;; [unrolled: 2-line block ×3, first 2 shown]
	v_cndmask_b32_e64 v17, 0, -1, vcc_lo
	v_cmp_eq_u32_e32 vcc_lo, s29, v12
	v_cndmask_b32_e64 v9, v17, v9, s0
	v_cndmask_b32_e32 v12, v16, v15, vcc_lo
	v_add_co_u32 v15, vcc_lo, v4, 1
	v_add_co_ci_u32_e32 v16, vcc_lo, 0, v11, vcc_lo
	v_cmp_ne_u32_e32 vcc_lo, 0, v12
	v_cndmask_b32_e32 v10, v16, v14, vcc_lo
	v_cndmask_b32_e32 v12, v15, v13, vcc_lo
	v_cmp_ne_u32_e32 vcc_lo, 0, v9
	v_cndmask_b32_e32 v10, v11, v10, vcc_lo
	v_cndmask_b32_e32 v9, v4, v12, vcc_lo
.LBB0_4:                                ;   in Loop: Header=BB0_2 Depth=1
	s_andn2_saveexec_b32 s0, s1
	s_cbranch_execz .LBB0_6
; %bb.5:                                ;   in Loop: Header=BB0_2 Depth=1
	v_cvt_f32_u32_e32 v4, s28
	s_sub_i32 s1, 0, s28
	v_rcp_iflag_f32_e32 v4, v4
	v_mul_f32_e32 v4, 0x4f7ffffe, v4
	v_cvt_u32_f32_e32 v4, v4
	v_mul_lo_u32 v9, s1, v4
	v_mul_hi_u32 v9, v4, v9
	v_add_nc_u32_e32 v4, v4, v9
	v_mul_hi_u32 v4, v5, v4
	v_mul_lo_u32 v9, v4, s28
	v_add_nc_u32_e32 v10, 1, v4
	v_sub_nc_u32_e32 v9, v5, v9
	v_subrev_nc_u32_e32 v11, s28, v9
	v_cmp_le_u32_e32 vcc_lo, s28, v9
	v_cndmask_b32_e32 v9, v9, v11, vcc_lo
	v_cndmask_b32_e32 v4, v4, v10, vcc_lo
	v_cmp_le_u32_e32 vcc_lo, s28, v9
	v_add_nc_u32_e32 v10, 1, v4
	v_cndmask_b32_e32 v9, v4, v10, vcc_lo
	v_mov_b32_e32 v10, v3
.LBB0_6:                                ;   in Loop: Header=BB0_2 Depth=1
	s_or_b32 exec_lo, exec_lo, s0
	v_mul_lo_u32 v4, v10, s28
	v_mul_lo_u32 v13, v9, s29
	s_load_dwordx2 s[0:1], s[22:23], 0x0
	v_mad_u64_u32 v[11:12], null, v9, s28, 0
	s_load_dwordx2 s[28:29], s[6:7], 0x0
	s_add_u32 s26, s26, 1
	s_addc_u32 s27, s27, 0
	s_add_u32 s6, s6, 8
	s_addc_u32 s7, s7, 0
	s_add_u32 s22, s22, 8
	v_add3_u32 v4, v12, v13, v4
	v_sub_co_u32 v5, vcc_lo, v5, v11
	s_addc_u32 s23, s23, 0
	s_add_u32 s24, s24, 8
	v_sub_co_ci_u32_e32 v4, vcc_lo, v6, v4, vcc_lo
	s_addc_u32 s25, s25, 0
	s_waitcnt lgkmcnt(0)
	v_mul_lo_u32 v6, s0, v4
	v_mul_lo_u32 v11, s1, v5
	v_mad_u64_u32 v[1:2], null, s0, v5, v[1:2]
	v_mul_lo_u32 v4, s28, v4
	v_mul_lo_u32 v12, s29, v5
	v_mad_u64_u32 v[7:8], null, s28, v5, v[7:8]
	v_cmp_ge_u64_e64 s0, s[26:27], s[10:11]
	v_add3_u32 v2, v11, v2, v6
	v_add3_u32 v8, v12, v8, v4
	s_and_b32 vcc_lo, exec_lo, s0
	s_cbranch_vccnz .LBB0_9
; %bb.7:                                ;   in Loop: Header=BB0_2 Depth=1
	v_mov_b32_e32 v5, v9
	v_mov_b32_e32 v6, v10
	s_branch .LBB0_2
.LBB0_8:
	v_mov_b32_e32 v8, v2
	v_mov_b32_e32 v10, v6
	;; [unrolled: 1-line block ×4, first 2 shown]
.LBB0_9:
	s_load_dwordx2 s[0:1], s[4:5], 0x28
	v_mul_hi_u32 v3, 0x1e1e1e2, v0
	s_lshl_b64 s[6:7], s[10:11], 3
	v_mov_b32_e32 v21, 0
	s_add_u32 s4, s18, s6
	s_addc_u32 s5, s19, s7
                                        ; implicit-def: $vgpr27
                                        ; implicit-def: $vgpr5
                                        ; implicit-def: $vgpr26
                                        ; implicit-def: $vgpr28
                                        ; implicit-def: $vgpr25
                                        ; implicit-def: $vgpr29
                                        ; implicit-def: $vgpr24
                                        ; implicit-def: $vgpr30
                                        ; implicit-def: $vgpr23
                                        ; implicit-def: $vgpr31
                                        ; implicit-def: $vgpr22
                                        ; implicit-def: $vgpr32
                                        ; implicit-def: $vgpr20
                                        ; implicit-def: $vgpr33
                                        ; implicit-def: $vgpr19
                                        ; implicit-def: $vgpr34
                                        ; implicit-def: $vgpr18
                                        ; implicit-def: $vgpr35
                                        ; implicit-def: $vgpr17
                                        ; implicit-def: $vgpr36
                                        ; implicit-def: $vgpr16
                                        ; implicit-def: $vgpr37
                                        ; implicit-def: $vgpr15
                                        ; implicit-def: $vgpr38
                                        ; implicit-def: $vgpr14
                                        ; implicit-def: $vgpr39
                                        ; implicit-def: $vgpr13
                                        ; implicit-def: $vgpr40
                                        ; implicit-def: $vgpr6
                                        ; implicit-def: $vgpr41
                                        ; implicit-def: $vgpr4
                                        ; implicit-def: $vgpr42
	v_mul_u32_u24_e32 v3, 0x88, v3
	v_sub_nc_u32_e32 v11, v0, v3
	v_mov_b32_e32 v0, 0
	s_waitcnt lgkmcnt(0)
	v_cmp_gt_u64_e32 vcc_lo, s[0:1], v[9:10]
	v_cmp_gt_u32_e64 s0, 0x68, v11
	s_and_b32 s1, vcc_lo, s0
	s_and_saveexec_b32 s10, s1
	s_cbranch_execz .LBB0_11
; %bb.10:
	s_add_u32 s6, s16, s6
	s_addc_u32 s7, s17, s7
	v_mad_u64_u32 v[3:4], null, s20, v11, 0
	s_load_dwordx2 s[6:7], s[6:7], 0x0
	v_add_nc_u32_e32 v21, 0x68, v11
	v_lshlrev_b64 v[0:1], 2, v[1:2]
	v_add_nc_u32_e32 v23, 0xd0, v11
	v_add_nc_u32_e32 v24, 0x138, v11
	;; [unrolled: 1-line block ×3, first 2 shown]
	v_mad_u64_u32 v[5:6], null, s20, v21, 0
	v_mov_b32_e32 v2, v4
	v_mad_u64_u32 v[12:13], null, s20, v23, 0
	v_mad_u64_u32 v[14:15], null, s20, v24, 0
	;; [unrolled: 1-line block ×3, first 2 shown]
	v_mov_b32_e32 v2, v6
	v_mad_u64_u32 v[19:20], null, s20, v25, 0
	v_mov_b32_e32 v6, v13
	v_mov_b32_e32 v13, v15
	s_waitcnt lgkmcnt(0)
	v_mul_lo_u32 v4, s7, v9
	v_mul_lo_u32 v22, s6, v10
	v_mad_u64_u32 v[16:17], null, s6, v9, 0
	v_add_nc_u32_e32 v26, 0x2d8, v11
	v_add_nc_u32_e32 v34, 0x478, v11
	v_or_b32_e32 v37, 0x680, v11
	v_add3_u32 v17, v17, v22, v4
	v_mad_u64_u32 v[21:22], null, s21, v21, v[2:3]
	v_mov_b32_e32 v4, v18
	v_mad_u64_u32 v[22:23], null, s21, v23, v[6:7]
	v_lshlrev_b64 v[15:16], 2, v[16:17]
	v_mad_u64_u32 v[17:18], null, s21, v24, v[13:14]
	v_lshlrev_b64 v[2:3], 2, v[3:4]
	v_mov_b32_e32 v6, v21
	v_add_nc_u32_e32 v21, 0x208, v11
	v_add_co_u32 v4, s1, s12, v15
	v_add_co_ci_u32_e64 v15, s1, s13, v16, s1
	v_mov_b32_e32 v13, v22
	v_add_co_u32 v38, s1, v4, v0
	v_add_co_ci_u32_e64 v39, s1, v15, v1, s1
	v_lshlrev_b64 v[0:1], 2, v[5:6]
	v_add_co_u32 v2, s1, v38, v2
	v_add_co_ci_u32_e64 v3, s1, v39, v3, s1
	v_mov_b32_e32 v6, v20
	v_add_co_u32 v4, s1, v38, v0
	v_add_co_ci_u32_e64 v5, s1, v39, v1, s1
	v_lshlrev_b64 v[0:1], 2, v[12:13]
	v_mad_u64_u32 v[12:13], null, s20, v21, 0
	v_mov_b32_e32 v15, v17
	v_mad_u64_u32 v[16:17], null, s21, v25, v[6:7]
	v_add_co_u32 v17, s1, v38, v0
	v_add_nc_u32_e32 v24, 0x270, v11
	v_add_co_ci_u32_e64 v18, s1, v39, v1, s1
	v_lshlrev_b64 v[0:1], 2, v[14:15]
	v_mov_b32_e32 v6, v13
	v_mov_b32_e32 v20, v16
	v_mad_u64_u32 v[14:15], null, s20, v24, 0
	v_mad_u64_u32 v[21:22], null, s21, v21, v[6:7]
	v_add_co_u32 v22, s1, v38, v0
	v_add_co_ci_u32_e64 v23, s1, v39, v1, s1
	v_lshlrev_b64 v[0:1], 2, v[19:20]
	v_mad_u64_u32 v[19:20], null, s20, v26, 0
	v_mov_b32_e32 v6, v15
	v_mov_b32_e32 v13, v21
	v_add_nc_u32_e32 v21, 0x3a8, v11
	v_mad_u64_u32 v[15:16], null, s21, v24, v[6:7]
	v_add_co_u32 v24, s1, v38, v0
	v_mov_b32_e32 v0, v20
	v_add_co_ci_u32_e64 v25, s1, v39, v1, s1
	v_add_nc_u32_e32 v16, 0x340, v11
	v_lshlrev_b64 v[12:13], 2, v[12:13]
	v_mad_u64_u32 v[0:1], null, s21, v26, v[0:1]
	v_mad_u64_u32 v[26:27], null, s20, v16, 0
	v_add_co_u32 v12, s1, v38, v12
	v_add_co_ci_u32_e64 v13, s1, v39, v13, s1
	v_mov_b32_e32 v20, v0
	v_lshlrev_b64 v[0:1], 2, v[14:15]
	v_mad_u64_u32 v[14:15], null, s20, v21, 0
	v_mov_b32_e32 v6, v27
	v_lshlrev_b64 v[19:20], 2, v[19:20]
	v_add_co_u32 v32, s1, v38, v0
	v_add_co_ci_u32_e64 v33, s1, v39, v1, s1
	v_mov_b32_e32 v0, v15
	v_add_co_u32 v15, s1, v38, v19
	v_mad_u64_u32 v[27:28], null, s21, v16, v[6:7]
	v_add_co_ci_u32_e64 v16, s1, v39, v20, s1
	v_mad_u64_u32 v[19:20], null, s21, v21, v[0:1]
	s_clause 0x7
	global_load_dword v0, v[2:3], off
	global_load_dword v5, v[4:5], off
	;; [unrolled: 1-line block ×8, first 2 shown]
	v_add_nc_u32_e32 v6, 0x410, v11
	v_mad_u64_u32 v[12:13], null, s20, v34, 0
	v_lshlrev_b64 v[1:2], 2, v[26:27]
	v_add_nc_u32_e32 v27, 0x5b0, v11
	v_mad_u64_u32 v[20:21], null, s20, v6, 0
	v_mov_b32_e32 v15, v19
	v_add_co_u32 v1, s1, v38, v1
	v_add_co_ci_u32_e64 v2, s1, v39, v2, s1
	v_mov_b32_e32 v3, v21
	v_mad_u64_u32 v[23:24], null, s20, v27, 0
	v_mad_u64_u32 v[3:4], null, s21, v6, v[3:4]
	v_mov_b32_e32 v4, v13
	v_lshlrev_b64 v[13:14], 2, v[14:15]
	v_add_nc_u32_e32 v6, 0x4e0, v11
	v_mov_b32_e32 v21, v3
	v_mad_u64_u32 v[15:16], null, s20, v6, 0
	v_add_co_u32 v17, s1, v38, v13
	v_add_co_ci_u32_e64 v18, s1, v39, v14, s1
	v_add_nc_u32_e32 v14, 0x548, v11
	v_lshlrev_b64 v[19:20], 2, v[20:21]
	v_mad_u64_u32 v[21:22], null, s20, v14, 0
	v_add_co_u32 v19, s1, v38, v19
	v_add_co_ci_u32_e64 v20, s1, v39, v20, s1
	s_waitcnt vmcnt(6)
	v_mad_u64_u32 v[3:4], null, s21, v34, v[4:5]
	v_mov_b32_e32 v13, v3
	v_mov_b32_e32 v3, v16
	v_lshlrev_b64 v[12:13], 2, v[12:13]
	v_mad_u64_u32 v[3:4], null, s21, v6, v[3:4]
	v_add_nc_u32_e32 v6, 0x618, v11
	v_mov_b32_e32 v4, v22
	v_add_co_u32 v12, s1, v38, v12
	v_mad_u64_u32 v[25:26], null, s20, v6, 0
	v_mov_b32_e32 v16, v3
	v_mad_u64_u32 v[3:4], null, s21, v14, v[4:5]
	v_mov_b32_e32 v4, v24
	v_add_co_ci_u32_e64 v13, s1, v39, v13, s1
	v_lshlrev_b64 v[14:15], 2, v[15:16]
	v_mad_u64_u32 v[34:35], null, s21, v27, v[4:5]
	v_mad_u64_u32 v[35:36], null, s20, v37, 0
	v_mov_b32_e32 v4, v26
	v_mov_b32_e32 v22, v3
	v_add_co_u32 v14, s1, v38, v14
	v_mov_b32_e32 v24, v34
	v_mad_u64_u32 v[3:4], null, s21, v6, v[4:5]
	v_mov_b32_e32 v4, v36
	v_lshlrev_b64 v[21:22], 2, v[21:22]
	v_add_co_ci_u32_e64 v15, s1, v39, v15, s1
	v_lshlrev_b64 v[23:24], 2, v[23:24]
	v_mad_u64_u32 v[36:37], null, s21, v37, v[4:5]
	v_mov_b32_e32 v26, v3
	v_add_co_u32 v3, s1, v38, v21
	v_add_co_ci_u32_e64 v4, s1, v39, v22, s1
	v_lshlrev_b64 v[21:22], 2, v[25:26]
	v_add_co_u32 v23, s1, v38, v23
	v_lshlrev_b64 v[25:26], 2, v[35:36]
	v_add_co_ci_u32_e64 v24, s1, v39, v24, s1
	v_add_co_u32 v21, s1, v38, v21
	v_add_co_ci_u32_e64 v22, s1, v39, v22, s1
	v_add_co_u32 v25, s1, v38, v25
	v_add_co_ci_u32_e64 v26, s1, v39, v26, s1
	s_clause 0x8
	global_load_dword v34, v[1:2], off
	global_load_dword v35, v[17:18], off
	;; [unrolled: 1-line block ×9, first 2 shown]
	v_lshrrev_b32_e32 v21, 16, v0
	v_lshrrev_b32_e32 v27, 16, v5
	s_waitcnt vmcnt(14)
	v_lshrrev_b32_e32 v26, 16, v28
	s_waitcnt vmcnt(13)
	;; [unrolled: 2-line block ×15, first 2 shown]
	v_lshrrev_b32_e32 v4, 16, v42
.LBB0_11:
	s_or_b32 exec_lo, exec_lo, s10
	v_add_f16_e32 v64, v5, v42
	v_sub_f16_e32 v60, v27, v4
	v_add_f16_e32 v62, v28, v41
	v_sub_f16_e32 v59, v26, v6
	v_add_f16_e32 v63, v29, v40
	v_mul_f16_e32 v67, 0x39e9, v64
	v_pk_mul_f16 v53, 0x37222de8, v64 op_sel_hi:[1,0]
	v_mul_f16_e32 v68, 0x2de8, v62
	v_sub_f16_e32 v55, v25, v13
	v_add_f16_e32 v57, v30, v39
	v_fmamk_f16 v1, v60, 0xb964, v67
	v_mul_f16_e32 v69, 0xb8d2, v63
	v_fmamk_f16 v2, v59, 0xbbf7, v68
	v_pk_mul_f16 v50, 0xb8d2bbdd, v62 op_sel_hi:[1,0]
	v_pk_fma_f16 v12, 0xbb29bbf7, v60, v53 op_sel_hi:[1,0,1]
	v_add_f16_e32 v1, v0, v1
	v_sub_f16_e32 v56, v24, v14
	v_add_f16_e32 v58, v31, v38
	v_mul_f16_e32 v70, 0xbbdd, v57
	v_fmamk_f16 v3, v55, 0xba62, v69
	v_add_f16_e32 v1, v2, v1
	v_pk_fma_f16 v2, 0xba62b1e1, v59, v50 op_sel_hi:[1,0,1]
	v_pk_add_f16 v12, v0, v12 op_sel_hi:[0,1]
	v_pk_mul_f16 v51, 0xbbddb461, v63 op_sel_hi:[1,0]
	v_sub_f16_e32 v54, v23, v15
	v_add_f16_e32 v65, v32, v37
	v_mul_f16_e32 v66, 0xbacd, v58
	v_fmamk_f16 v43, v56, 0xb1e1, v70
	v_add_f16_e32 v1, v3, v1
	v_pk_add_f16 v2, v2, v12
	v_pk_fma_f16 v3, 0x31e13bb2, v55, v51 op_sel_hi:[1,0,1]
	v_pk_mul_f16 v47, 0xb4613b76, v57 op_sel_hi:[1,0]
	v_sub_f16_e32 v52, v22, v16
	v_mul_f16_e32 v61, 0xb461, v65
	v_fmamk_f16 v12, v54, 0x3836, v66
	v_add_f16_e32 v43, v43, v1
	v_pk_add_f16 v2, v3, v2
	v_pk_fma_f16 v3, 0x3bb235c8, v56, v47 op_sel_hi:[1,0,1]
	v_pk_mul_f16 v1, 0x39e93722, v58 op_sel_hi:[1,0]
	v_fmamk_f16 v44, v52, 0x3bb2, v61
	v_add_f16_e32 v12, v12, v43
	v_add_f16_e32 v72, v33, v36
	v_pk_add_f16 v2, v3, v2
	v_pk_fma_f16 v43, 0x3964bb29, v54, v1 op_sel_hi:[1,0,1]
	v_pk_mul_f16 v3, 0x3b76bacd, v65 op_sel_hi:[1,0]
	v_sub_f16_e32 v46, v20, v17
	v_add_f16_e32 v12, v44, v12
	v_mul_f16_e32 v49, 0x3722, v72
	v_add_f16_e32 v71, v34, v35
	v_pk_add_f16 v2, v43, v2
	v_pk_fma_f16 v44, 0xb5c8b836, v52, v3 op_sel_hi:[1,0,1]
	v_pk_mul_f16 v43, 0x2de8b8d2, v72 op_sel_hi:[1,0]
	v_fmamk_f16 v73, v46, 0x3b29, v49
	v_sub_f16_e32 v48, v19, v18
	v_mul_f16_e32 v45, 0x3b76, v71
	v_pk_add_f16 v2, v44, v2
	v_pk_fma_f16 v74, 0xbbf73a62, v46, v43 op_sel_hi:[1,0,1]
	v_pk_mul_f16 v44, 0xbacd39e9, v71 op_sel_hi:[1,0]
	v_add_f16_e32 v12, v73, v12
	v_fmamk_f16 v73, v48, 0x35c8, v45
	v_pk_add_f16 v2, v74, v2
	v_pk_fma_f16 v74, 0xb8363964, v48, v44 op_sel_hi:[1,0,1]
	v_add_f16_e32 v12, v73, v12
	v_pk_add_f16 v2, v74, v2
	s_and_saveexec_b32 s1, s0
	s_cbranch_execz .LBB0_13
; %bb.12:
	v_mul_f16_e32 v73, 0x3b76, v64
	v_perm_b32 v93, v0, v0, 0x5040100
	v_mul_f16_e32 v74, 0x39e9, v62
	v_mul_f16_e32 v76, 0x3722, v63
	;; [unrolled: 1-line block ×3, first 2 shown]
	v_fmamk_f16 v78, v60, 0xb5c8, v73
	v_mul_f16_e32 v84, 0xb461, v58
	v_fmamk_f16 v82, v59, 0xb964, v74
	v_fmamk_f16 v86, v55, 0xbb29, v76
	;; [unrolled: 1-line block ×3, first 2 shown]
	v_add_f16_e32 v78, v0, v78
	v_add_f16_e32 v0, v0, v5
	v_mul_f16_e32 v75, 0xb964, v60
	v_mul_f16_e32 v87, 0xb8d2, v65
	v_fmamk_f16 v92, v54, 0xbbb2, v84
	v_add_f16_e32 v78, v82, v78
	v_add_f16_e32 v0, v0, v28
	v_mul_f16_e32 v82, 0xb5c8, v60
	v_mul_f16_e32 v77, 0xbbf7, v59
	;; [unrolled: 1-line block ×3, first 2 shown]
	v_add_f16_e32 v78, v86, v78
	v_add_f16_e32 v0, v0, v29
	v_mul_f16_e32 v86, 0xbacd, v72
	v_fmamk_f16 v95, v52, 0xba62, v87
	v_perm_b32 v67, v67, v73, 0x5040100
	v_add_f16_e32 v78, v89, v78
	v_add_f16_e32 v0, v0, v30
	v_perm_b32 v73, v75, v82, 0x5040100
	v_mul_f16_e32 v79, 0xba62, v55
	v_mul_f16_e32 v90, 0xbb29, v55
	v_add_f16_e32 v78, v92, v78
	v_add_f16_e32 v0, v0, v31
	v_fmamk_f16 v75, v46, 0xb836, v86
	v_perm_b32 v68, v68, v74, 0x5040100
	v_perm_b32 v74, v77, v88, 0x5040100
	v_add_f16_e32 v78, v95, v78
	v_add_f16_e32 v0, v0, v32
	v_pk_add_f16 v67, v67, v73 neg_lo:[0,1] neg_hi:[0,1]
	v_perm_b32 v69, v69, v76, 0x5040100
	v_pk_add_f16 v68, v68, v74 neg_lo:[0,1] neg_hi:[0,1]
	v_add_f16_e32 v73, v75, v78
	v_add_f16_e32 v0, v0, v33
	v_perm_b32 v75, v79, v90, 0x5040100
	v_pk_add_f16 v67, v93, v67
	v_pack_b32_f16 v74, v60, v60
	v_pk_mul_f16 v60, 0xbb29bbf7, v60 op_sel_hi:[1,0]
	v_add_f16_e32 v0, v0, v34
	v_mul_f16_e32 v81, 0xb1e1, v56
	v_mul_f16_e32 v91, 0xbbdd, v71
	v_pack_b32_f16 v64, v64, v64
	v_pk_add_f16 v67, v68, v67
	v_add_f16_e32 v0, v0, v35
	v_pack_b32_f16 v68, v59, v59
	v_pk_mul_f16 v59, 0xba62b1e1, v59 op_sel_hi:[1,0]
	v_pk_add_f16 v69, v69, v75 neg_lo:[0,1] neg_hi:[0,1]
	v_mul_f16_e32 v75, 0xbbf7, v56
	v_add_f16_e32 v0, v0, v36
	v_pk_add_f16 v53, v53, v60 neg_lo:[0,1] neg_hi:[0,1]
	v_fmamk_f16 v77, v48, 0xb1e1, v91
	v_pack_b32_f16 v62, v62, v62
	v_perm_b32 v70, v70, v80, 0x5040100
	v_add_f16_e32 v0, v0, v37
	v_pack_b32_f16 v76, v55, v55
	v_pk_mul_f16 v55, 0x31e13bb2, v55 op_sel_hi:[1,0]
	v_perm_b32 v75, v81, v75, 0x5040100
	v_pk_add_f16 v50, v50, v59 neg_lo:[0,1] neg_hi:[0,1]
	v_add_f16_e32 v0, v0, v38
	v_pk_add_f16 v53, v93, v53
	v_pk_mul_f16 v59, 0xbbddbacd, v64
	v_pk_mul_f16 v64, 0xb8d2b461, v64
	v_mul_f16_e32 v83, 0x3836, v54
	v_add_f16_e32 v0, v0, v39
	v_add_f16_e32 v73, v77, v73
	v_pack_b32_f16 v63, v63, v63
	v_pack_b32_f16 v77, v56, v56
	v_pk_mul_f16 v56, 0x3bb235c8, v56 op_sel_hi:[1,0]
	v_pk_add_f16 v67, v69, v67
	v_pack_b32_f16 v69, v54, v54
	v_pk_add_f16 v70, v70, v75 neg_lo:[0,1] neg_hi:[0,1]
	v_pk_mul_f16 v75, 0x3964bb29, v54 op_sel_hi:[1,0]
	v_mul_f16_e32 v54, 0xbbb2, v54
	v_pk_mul_f16 v81, 0x3b763722, v62
	v_pk_add_f16 v50, v50, v53
	v_pk_add_f16 v51, v51, v55 neg_lo:[0,1] neg_hi:[0,1]
	v_pk_mul_f16 v62, 0xb461bacd, v62
	v_add_f16_e32 v0, v0, v40
	v_pk_fma_f16 v82, 0xba62bbb2, v74, v64 neg_lo:[0,1,0] neg_hi:[0,1,0]
	v_pack_b32_f16 v57, v57, v57
	v_perm_b32 v66, v66, v84, 0x5040100
	v_perm_b32 v54, v83, v54, 0x5040100
	v_pk_mul_f16 v53, 0xbacd2de8, v63
	v_pk_add_f16 v50, v51, v50
	v_pk_add_f16 v47, v47, v56 neg_lo:[0,1] neg_hi:[0,1]
	v_pk_mul_f16 v63, 0x3b7639e9, v63
	v_add_f16_e32 v0, v0, v41
	v_pk_add_f16 v82, v93, v82
	v_pk_fma_f16 v83, 0x3bb23836, v68, v62 neg_lo:[0,1,0] neg_hi:[0,1,0]
	v_mul_f16_e32 v85, 0x3bb2, v52
	v_pack_b32_f16 v78, v52, v52
	v_pk_mul_f16 v79, 0xb5c8b836, v52 op_sel_hi:[1,0]
	v_mul_f16_e32 v52, 0xba62, v52
	v_pack_b32_f16 v58, v58, v58
	v_pk_add_f16 v67, v70, v67
	v_pk_add_f16 v54, v66, v54 neg_lo:[0,1] neg_hi:[0,1]
	v_pk_mul_f16 v55, 0x39e9b8d2, v57
	v_pk_mul_f16 v57, 0xbacd3722, v57
	v_add_f16_e32 v84, v0, v42
	v_pk_add_f16 v0, v47, v50
	v_pk_add_f16 v1, v1, v75 neg_lo:[0,1] neg_hi:[0,1]
	v_pk_add_f16 v47, v83, v82
	v_pk_fma_f16 v50, 0xb5c83964, v76, v63 neg_lo:[0,1,0] neg_hi:[0,1,0]
	v_mul_f16_e32 v89, 0x3b29, v46
	v_pack_b32_f16 v70, v46, v46
	v_pk_mul_f16 v66, 0xbbf73a62, v46 op_sel_hi:[1,0]
	v_perm_b32 v61, v61, v87, 0x5040100
	v_perm_b32 v52, v85, v52, 0x5040100
	v_mul_f16_e32 v46, 0xb836, v46
	v_pack_b32_f16 v65, v65, v65
	v_pk_add_f16 v54, v54, v67
	v_pk_mul_f16 v67, 0xb8d23b76, v58
	v_pk_mul_f16 v58, 0x2de8bbdd, v58
	v_pk_add_f16 v0, v1, v0
	v_pk_add_f16 v1, v3, v79 neg_lo:[0,1] neg_hi:[0,1]
	v_pk_add_f16 v3, v50, v47
	v_pk_fma_f16 v47, 0xb836bb29, v77, v57 neg_lo:[0,1,0] neg_hi:[0,1,0]
	v_mul_f16_e32 v94, 0x35c8, v48
	v_pack_b32_f16 v60, v48, v48
	v_pk_mul_f16 v80, 0xb8363964, v48 op_sel_hi:[1,0]
	v_pk_add_f16 v52, v61, v52 neg_lo:[0,1] neg_hi:[0,1]
	v_perm_b32 v49, v49, v86, 0x5040100
	v_perm_b32 v46, v89, v46, 0x5040100
	v_mul_f16_e32 v48, 0xb1e1, v48
	v_pk_mul_f16 v61, 0x3722bbdd, v65
	v_pk_mul_f16 v65, 0x39e92de8, v65
	v_pk_add_f16 v0, v1, v0
	v_pk_add_f16 v1, v43, v66 neg_lo:[0,1] neg_hi:[0,1]
	v_pk_add_f16 v3, v47, v3
	v_pk_fma_f16 v43, 0x3bf7b1e1, v69, v58 neg_lo:[0,1,0] neg_hi:[0,1,0]
	v_pk_add_f16 v52, v52, v54
	v_pk_add_f16 v46, v49, v46 neg_lo:[0,1] neg_hi:[0,1]
	v_perm_b32 v45, v45, v91, 0x5040100
	v_perm_b32 v48, v94, v48, 0x5040100
	v_pk_add_f16 v0, v1, v0
	v_pk_add_f16 v1, v44, v80 neg_lo:[0,1] neg_hi:[0,1]
	v_pk_add_f16 v3, v43, v3
	v_pk_fma_f16 v44, 0xb9643bf7, v78, v65 neg_lo:[0,1,0] neg_hi:[0,1,0]
	v_pk_add_f16 v46, v46, v52
	v_pk_add_f16 v45, v45, v48 neg_lo:[0,1] neg_hi:[0,1]
	v_pk_add_f16 v0, v1, v0
	v_pk_fma_f16 v1, 0xb1e1b836, v74, v59
	v_pk_add_f16 v3, v44, v3
	v_pk_fma_f16 v44, 0xba62bbb2, v74, v64
	v_pk_add_f16 v43, v45, v46
	v_pk_fma_f16 v46, 0xb1e1b836, v74, v59 neg_lo:[0,1,0] neg_hi:[0,1,0]
	v_pk_add_f16 v1, v93, v1
	v_pk_fma_f16 v48, 0x35c83b29, v68, v81
	v_pk_add_f16 v44, v93, v44
	v_pk_fma_f16 v49, 0x3bb23836, v68, v62
	v_pk_add_f16 v46, v93, v46
	v_pk_fma_f16 v50, 0x35c83b29, v68, v81 neg_lo:[0,1,0] neg_hi:[0,1,0]
	;; [unrolled: 6-line block ×3, first 2 shown]
	v_pk_add_f16 v1, v48, v1
	v_pk_fma_f16 v48, 0x39643a62, v77, v55
	v_pk_add_f16 v44, v49, v44
	v_pk_fma_f16 v49, 0xb836bb29, v77, v57
	v_pack_b32_f16 v72, v72, v72
	v_pk_add_f16 v46, v50, v46
	v_pk_fma_f16 v50, 0x39643a62, v77, v55 neg_lo:[0,1,0] neg_hi:[0,1,0]
	v_pk_add_f16 v1, v48, v1
	v_pk_fma_f16 v48, 0xba62b5c8, v69, v67
	v_pk_add_f16 v44, v49, v44
	v_pk_fma_f16 v49, 0x3bf7b1e1, v69, v58
	v_pk_mul_f16 v51, 0xb46139e9, v72
	v_pk_mul_f16 v72, 0xbbdd3b76, v72
	v_pk_add_f16 v46, v50, v46
	v_pk_fma_f16 v50, 0xba62b5c8, v69, v67 neg_lo:[0,1,0] neg_hi:[0,1,0]
	v_pack_b32_f16 v71, v71, v71
	v_pk_add_f16 v1, v48, v1
	v_pk_fma_f16 v48, 0x3b29b1e1, v78, v61
	v_pk_add_f16 v44, v49, v44
	v_pk_fma_f16 v49, 0xb9643bf7, v78, v65
	v_pk_fma_f16 v45, 0xb1e1b5c8, v70, v72 neg_lo:[0,1,0] neg_hi:[0,1,0]
	v_pk_add_f16 v46, v50, v46
	v_pk_fma_f16 v50, 0x3b29b1e1, v78, v61 neg_lo:[0,1,0] neg_hi:[0,1,0]
	v_pk_mul_f16 v56, 0x2de8b461, v71
	v_pk_mul_f16 v71, 0x3722b8d2, v71
	v_pk_add_f16 v1, v48, v1
	v_pk_fma_f16 v48, 0xbbb23964, v70, v51
	v_pk_add_f16 v44, v49, v44
	v_pk_fma_f16 v49, 0xb1e1b5c8, v70, v72
	v_pk_add_f16 v3, v45, v3
	v_pk_add_f16 v45, v50, v46
	v_pk_fma_f16 v46, 0xbbb23964, v70, v51 neg_lo:[0,1,0] neg_hi:[0,1,0]
	v_pk_add_f16 v1, v48, v1
	v_pk_add_f16 v44, v49, v44
	v_pk_fma_f16 v48, 0x3b29ba62, v60, v71
	v_pk_fma_f16 v49, 0x3bf7bbb2, v60, v56
	v_pk_fma_f16 v50, 0x3b29ba62, v60, v71 neg_lo:[0,1,0] neg_hi:[0,1,0]
	v_pk_add_f16 v46, v46, v45
	v_pk_fma_f16 v51, 0x3bf7bbb2, v60, v56 neg_lo:[0,1,0] neg_hi:[0,1,0]
	v_pk_add_f16 v48, v48, v44
	v_pk_add_f16 v49, v49, v1
	v_mad_u32_u24 v47, v11, 34, 0
	v_alignbit_b32 v44, v0, v0, 16
	v_pk_add_f16 v45, v50, v3
	v_pk_add_f16 v46, v51, v46
	v_alignbit_b32 v1, v48, v48, 16
	v_alignbit_b32 v0, v49, v49, 16
	v_perm_b32 v3, v73, v12, 0x5040100
	ds_write_b16 v47, v84
	ds_write_b128 v47, v[43:46] offset:2
	ds_write_b128 v47, v[0:3] offset:18
.LBB0_13:
	s_or_b32 exec_lo, exec_lo, s1
	v_sub_f16_e32 v69, v5, v42
	v_add_f16_e32 v46, v27, v4
	v_sub_f16_e32 v67, v28, v41
	v_add_f16_e32 v47, v26, v6
	v_sub_f16_e32 v66, v29, v40
	v_pk_mul_f16 v45, 0xb964b5c8, v69 op_sel_hi:[1,0]
	v_add_f16_e32 v49, v25, v13
	v_pk_mul_f16 v63, 0xbbf7b964, v67 op_sel_hi:[1,0]
	v_sub_f16_e32 v62, v30, v39
	v_pk_mul_f16 v64, 0xba62bb29, v66 op_sel_hi:[1,0]
	v_pk_fma_f16 v0, 0x39e93b76, v46, v45 op_sel_hi:[1,0,1] neg_lo:[0,0,1] neg_hi:[0,0,1]
	v_add_f16_e32 v50, v24, v14
	v_pk_fma_f16 v3, 0x2de839e9, v47, v63 op_sel_hi:[1,0,1] neg_lo:[0,0,1] neg_hi:[0,0,1]
	v_sub_f16_e32 v61, v31, v38
	v_pk_mul_f16 v65, 0xb1e1bbf7, v62 op_sel_hi:[1,0]
	v_pk_add_f16 v0, v21, v0 op_sel_hi:[0,1]
	v_pk_mul_f16 v53, 0xbb29bbf7, v69 op_sel_hi:[1,0]
	v_add_f16_e32 v51, v23, v15
	v_pk_mul_f16 v68, 0x3836bbb2, v61 op_sel_hi:[1,0]
	v_pk_mul_f16 v56, 0xba62b1e1, v67 op_sel_hi:[1,0]
	v_pk_add_f16 v0, v3, v0
	v_pk_fma_f16 v3, 0xb8d23722, v49, v64 op_sel_hi:[1,0,1] neg_lo:[0,0,1] neg_hi:[0,0,1]
	v_pk_fma_f16 v1, 0x37222de8, v46, v53 op_sel_hi:[1,0,1] neg_lo:[0,0,1] neg_hi:[0,0,1]
	;; [unrolled: 1-line block ×4, first 2 shown]
	v_pk_mul_f16 v57, 0x31e13bb2, v66 op_sel_hi:[1,0]
	v_pk_add_f16 v0, v3, v0
	v_pk_fma_f16 v3, 0xbbdd2de8, v50, v65 op_sel_hi:[1,0,1] neg_lo:[0,0,1] neg_hi:[0,0,1]
	v_pk_add_f16 v1, v21, v1 op_sel_hi:[0,1]
	v_pk_mul_f16 v58, 0x3bb235c8, v62 op_sel_hi:[1,0]
	v_sub_f16_e32 v60, v32, v37
	v_sub_f16_e32 v59, v33, v36
	v_pk_add_f16 v0, v3, v0
	v_pk_add_f16 v1, v5, v1
	v_pk_fma_f16 v5, 0xbbddb461, v49, v57 op_sel_hi:[1,0,1] neg_lo:[0,0,1] neg_hi:[0,0,1]
	v_sub_f16_e32 v71, v34, v35
	s_waitcnt lgkmcnt(0)
	v_pk_add_f16 v48, v28, v0
	v_lshl_add_u32 v0, v11, 1, 0
	s_barrier
	buffer_gl0_inv
	ds_read_u16 v28, v0
	ds_read_u16 v40, v0 offset:272
	ds_read_u16 v39, v0 offset:544
	;; [unrolled: 1-line block ×12, first 2 shown]
	v_pk_add_f16 v1, v5, v1
	v_pk_fma_f16 v5, 0xb4613b76, v50, v58 op_sel_hi:[1,0,1] neg_lo:[0,0,1] neg_hi:[0,0,1]
	v_pk_mul_f16 v41, 0x3964bb29, v61 op_sel_hi:[1,0]
	v_add_f16_e32 v52, v22, v16
	v_pk_mul_f16 v70, 0x3bb2ba62, v60 op_sel_hi:[1,0]
	v_pk_mul_f16 v42, 0xb5c8b836, v60 op_sel_hi:[1,0]
	v_pk_add_f16 v1, v5, v1
	v_pk_fma_f16 v5, 0x39e93722, v51, v41 op_sel_hi:[1,0,1] neg_lo:[0,0,1] neg_hi:[0,0,1]
	v_add_f16_e32 v54, v20, v17
	v_pk_mul_f16 v43, 0x3b29b836, v59 op_sel_hi:[1,0]
	v_pk_fma_f16 v72, 0xb461b8d2, v52, v70 op_sel_hi:[1,0,1] neg_lo:[0,0,1] neg_hi:[0,0,1]
	v_pk_mul_f16 v44, 0xbbf73a62, v59 op_sel_hi:[1,0]
	v_pk_add_f16 v1, v5, v1
	v_pk_fma_f16 v5, 0x3b76bacd, v52, v42 op_sel_hi:[1,0,1] neg_lo:[0,0,1] neg_hi:[0,0,1]
	v_add_f16_e32 v55, v19, v18
	v_pk_mul_f16 v3, 0x35c8b1e1, v71 op_sel_hi:[1,0]
	v_pk_add_f16 v72, v72, v48
	v_pk_fma_f16 v73, 0x3722bacd, v54, v43 op_sel_hi:[1,0,1] neg_lo:[0,0,1] neg_hi:[0,0,1]
	v_pk_add_f16 v1, v5, v1
	v_pk_fma_f16 v5, 0x2de8b8d2, v54, v44 op_sel_hi:[1,0,1] neg_lo:[0,0,1] neg_hi:[0,0,1]
	v_pk_mul_f16 v48, 0xb8363964, v71 op_sel_hi:[1,0]
	s_waitcnt lgkmcnt(0)
	v_pk_add_f16 v72, v73, v72
	v_pk_fma_f16 v73, 0x3b76bbdd, v55, v3 op_sel_hi:[1,0,1] neg_lo:[0,0,1] neg_hi:[0,0,1]
	v_pk_add_f16 v5, v5, v1
	v_pk_fma_f16 v74, 0xbacd39e9, v55, v48 op_sel_hi:[1,0,1] neg_lo:[0,0,1] neg_hi:[0,0,1]
	s_barrier
	buffer_gl0_inv
	v_pk_add_f16 v1, v73, v72
	v_pk_add_f16 v5, v74, v5
	s_and_saveexec_b32 s1, s0
	s_cbranch_execz .LBB0_15
; %bb.14:
	v_add_f16_e32 v27, v21, v27
	v_pk_mul_f16 v73, 0x39e93b76, v46 op_sel_hi:[1,0]
	v_pack_b32_f16 v72, v46, v46
	v_perm_b32 v21, v21, v21, 0x5040100
	v_pk_mul_f16 v74, 0x2de839e9, v47 op_sel_hi:[1,0]
	v_add_f16_e32 v26, v27, v26
	v_pk_mul_f16 v46, 0x37222de8, v46 op_sel_hi:[1,0]
	v_pk_add_f16 v45, v73, v45
	v_pack_b32_f16 v69, v69, v69
	v_pack_b32_f16 v27, v47, v47
	v_add_f16_e32 v25, v26, v25
	v_pk_mul_f16 v26, 0xb8d23722, v49 op_sel_hi:[1,0]
	v_pack_b32_f16 v76, v50, v50
	v_pk_mul_f16 v77, 0xbbdd2de8, v50 op_sel_hi:[1,0]
	v_pk_mul_f16 v78, 0xbacdb461, v51 op_sel_hi:[1,0]
	v_add_f16_e32 v24, v25, v24
	v_pack_b32_f16 v25, v62, v62
	v_pack_b32_f16 v62, v51, v51
	v_pk_mul_f16 v79, 0xb461b8d2, v52 op_sel_hi:[1,0]
	v_pack_b32_f16 v80, v54, v54
	v_add_f16_e32 v23, v24, v23
	v_pack_b32_f16 v24, v52, v52
	v_pk_mul_f16 v47, 0xb8d2bbdd, v47 op_sel_hi:[1,0]
	v_pk_add_f16 v45, v21, v45
	v_pack_b32_f16 v67, v67, v67
	v_add_f16_e32 v22, v23, v22
	v_pk_mul_f16 v23, 0x3722bacd, v54 op_sel_hi:[1,0]
	v_pack_b32_f16 v75, v49, v49
	v_pk_mul_f16 v49, 0xbbddb461, v49 op_sel_hi:[1,0]
	v_pk_add_f16 v26, v26, v64
	v_add_f16_e32 v20, v22, v20
	v_pack_b32_f16 v66, v66, v66
	v_pack_b32_f16 v81, v55, v55
	v_pk_mul_f16 v82, 0x3b76bbdd, v55 op_sel_hi:[1,0]
	v_pack_b32_f16 v61, v61, v61
	v_add_f16_e32 v19, v20, v19
	v_pk_mul_f16 v20, 0xb4613b76, v50 op_sel_hi:[1,0]
	v_pk_mul_f16 v50, 0x39e93722, v51 op_sel_hi:[1,0]
	;; [unrolled: 1-line block ×4, first 2 shown]
	v_add_f16_e32 v18, v19, v18
	v_pk_add_f16 v54, v74, v63
	v_pk_mul_f16 v19, 0xbacd39e9, v55 op_sel_hi:[1,0]
	v_pk_add_f16 v55, v78, v68
	v_pk_add_f16 v63, v79, v70
	v_add_f16_e32 v17, v18, v17
	v_pk_add_f16 v45, v54, v45
	v_pk_add_f16 v18, v77, v65
	v_pack_b32_f16 v60, v60, v60
	v_pk_add_f16 v3, v82, v3
	v_add_f16_e32 v16, v17, v16
	v_pk_add_f16 v17, v46, v53
	v_pk_add_f16 v46, v47, v56
	;; [unrolled: 1-line block ×3, first 2 shown]
	v_pk_mul_f16 v49, 0x3bb23836, v67
	v_add_f16_e32 v15, v16, v15
	v_pk_add_f16 v16, v20, v58
	v_pk_mul_f16 v20, 0xba62bbb2, v69
	v_pk_add_f16 v17, v21, v17
	v_pk_add_f16 v26, v26, v45
	v_add_f16_e32 v14, v15, v14
	v_pk_mul_f16 v15, 0xb5c83964, v66
	v_pk_fma_f16 v45, 0xb8d2b461, v72, v20
	v_pk_add_f16 v17, v46, v17
	v_pk_add_f16 v18, v18, v26
	v_add_f16_e32 v13, v14, v13
	v_pk_fma_f16 v14, 0xb461bacd, v27, v49
	v_pk_add_f16 v26, v21, v45
	v_pk_add_f16 v17, v47, v17
	;; [unrolled: 1-line block ×3, first 2 shown]
	v_add_f16_e32 v6, v13, v6
	v_pk_fma_f16 v13, 0x3b7639e9, v75, v15
	v_pk_add_f16 v14, v14, v26
	v_pk_add_f16 v16, v16, v17
	;; [unrolled: 1-line block ×3, first 2 shown]
	v_add_f16_e32 v26, v6, v4
	v_pk_mul_f16 v4, 0xb836bb29, v25
	v_pk_add_f16 v18, v63, v18
	v_pk_add_f16 v6, v23, v43
	;; [unrolled: 1-line block ×3, first 2 shown]
	v_pk_mul_f16 v23, 0x3bf7b1e1, v61
	v_pk_fma_f16 v14, 0xbacd3722, v76, v4
	v_pk_add_f16 v16, v17, v16
	v_pk_add_f16 v17, v51, v42
	;; [unrolled: 1-line block ×3, first 2 shown]
	v_pk_mul_f16 v18, 0xb9643bf7, v60
	v_pk_add_f16 v13, v14, v13
	v_pk_fma_f16 v14, 0x2de8bbdd, v62, v23
	v_pk_add_f16 v16, v17, v16
	v_pk_add_f16 v17, v52, v44
	v_pk_fma_f16 v20, 0xb8d2b461, v72, v20 neg_lo:[0,0,1] neg_hi:[0,0,1]
	v_pk_fma_f16 v41, 0x39e92de8, v24, v18
	v_pk_add_f16 v14, v14, v13
	v_pk_add_f16 v13, v3, v6
	;; [unrolled: 1-line block ×4, first 2 shown]
	v_pk_fma_f16 v17, 0xb461bacd, v27, v49 neg_lo:[0,0,1] neg_hi:[0,0,1]
	v_pk_mul_f16 v20, 0xb1e1b836, v69
	v_pk_add_f16 v6, v41, v14
	v_pk_fma_f16 v15, 0x3b7639e9, v75, v15 neg_lo:[0,0,1] neg_hi:[0,0,1]
	v_pk_mul_f16 v41, 0x35c83b29, v67
	v_pk_add_f16 v16, v17, v16
	v_pk_fma_f16 v17, 0xbbddbacd, v72, v20
	v_pk_fma_f16 v20, 0xbbddbacd, v72, v20 neg_lo:[0,0,1] neg_hi:[0,0,1]
	v_pk_mul_f16 v44, 0xb836bbf7, v66
	v_pk_fma_f16 v4, 0xbacd3722, v76, v4 neg_lo:[0,0,1] neg_hi:[0,0,1]
	v_pk_add_f16 v15, v15, v16
	v_pk_add_f16 v16, v21, v17
	v_pk_fma_f16 v17, 0x3b763722, v27, v41
	v_pk_add_f16 v20, v21, v20
	v_pk_fma_f16 v21, 0x3b763722, v27, v41 neg_lo:[0,0,1] neg_hi:[0,0,1]
	v_pk_mul_f16 v25, 0x39643a62, v25
	v_pack_b32_f16 v59, v59, v59
	v_pk_add_f16 v16, v17, v16
	v_pk_fma_f16 v17, 0xbacd2de8, v75, v44
	v_pk_add_f16 v20, v21, v20
	v_pk_fma_f16 v21, 0xbacd2de8, v75, v44 neg_lo:[0,0,1] neg_hi:[0,0,1]
	v_pk_add_f16 v4, v4, v15
	v_pk_mul_f16 v42, 0xb1e1b5c8, v59
	v_pk_add_f16 v15, v17, v16
	v_pk_fma_f16 v16, 0x39e9b8d2, v76, v25
	v_pk_mul_f16 v17, 0xba62b5c8, v61
	v_pk_add_f16 v20, v21, v20
	v_pk_fma_f16 v21, 0x39e9b8d2, v76, v25 neg_lo:[0,0,1] neg_hi:[0,0,1]
	v_pk_fma_f16 v23, 0x2de8bbdd, v62, v23 neg_lo:[0,0,1] neg_hi:[0,0,1]
	v_pk_add_f16 v15, v16, v15
	v_pk_fma_f16 v16, 0xb8d23b76, v62, v17
	v_pk_mul_f16 v25, 0x3b29b1e1, v60
	v_pk_add_f16 v20, v21, v20
	v_pk_fma_f16 v17, 0xb8d23b76, v62, v17 neg_lo:[0,0,1] neg_hi:[0,0,1]
	v_pack_b32_f16 v22, v71, v71
	v_pk_fma_f16 v14, 0xbbdd3b76, v80, v42
	v_pk_add_f16 v4, v23, v4
	v_pk_fma_f16 v18, 0x39e92de8, v24, v18 neg_lo:[0,0,1] neg_hi:[0,0,1]
	v_pk_add_f16 v15, v16, v15
	v_pk_fma_f16 v16, 0x3722bbdd, v24, v25
	v_pk_add_f16 v17, v17, v20
	v_pk_fma_f16 v20, 0x3722bbdd, v24, v25 neg_lo:[0,0,1] neg_hi:[0,0,1]
	v_pk_mul_f16 v21, 0xbbb23964, v59
	v_pk_add_f16 v6, v14, v6
	v_pk_mul_f16 v14, 0x3b29ba62, v22
	v_pk_add_f16 v4, v18, v4
	v_pk_fma_f16 v18, 0xbbdd3b76, v80, v42 neg_lo:[0,0,1] neg_hi:[0,0,1]
	v_pk_add_f16 v15, v16, v15
	v_pk_add_f16 v16, v20, v17
	v_pk_fma_f16 v17, 0xb46139e9, v80, v21 neg_lo:[0,0,1] neg_hi:[0,0,1]
	v_pk_mul_f16 v20, 0x3bf7bbb2, v22
	v_pk_add_f16 v19, v19, v48
	v_pk_fma_f16 v21, 0xb46139e9, v80, v21
	v_pk_fma_f16 v43, 0x3722b8d2, v81, v14
	v_pk_add_f16 v4, v18, v4
	v_pk_fma_f16 v14, 0x3722b8d2, v81, v14 neg_lo:[0,0,1] neg_hi:[0,0,1]
	v_pk_add_f16 v16, v17, v16
	v_pk_fma_f16 v17, 0x2de8b461, v81, v20 neg_lo:[0,0,1] neg_hi:[0,0,1]
	v_pk_add_f16 v18, v21, v15
	v_pk_fma_f16 v20, 0x2de8b461, v81, v20
	v_pk_add_f16 v3, v19, v3
	v_pk_add_f16 v15, v43, v6
	;; [unrolled: 1-line block ×4, first 2 shown]
	v_lshl_add_u32 v17, v11, 5, v0
	v_pk_add_f16 v16, v20, v18
	v_alignbit_b32 v14, v3, v3, 16
	v_alignbit_b32 v3, v6, v6, 16
	;; [unrolled: 1-line block ×4, first 2 shown]
	ds_write_b16 v17, v26
	ds_write_b128 v17, v[13:16] offset:2
	ds_write_b128 v17, v[3:6] offset:18
.LBB0_15:
	s_or_b32 exec_lo, exec_lo, s1
	v_and_b32_e32 v3, 0xff, v11
	v_mov_b32_e32 v6, 12
	s_load_dwordx2 s[4:5], s[4:5], 0x0
	s_waitcnt lgkmcnt(0)
	s_barrier
	v_mul_lo_u16 v3, 0xf1, v3
	buffer_gl0_inv
	v_mov_b32_e32 v13, 0x1ba
	v_mov_b32_e32 v15, 1
	v_cmp_gt_u32_e64 s0, 0x55, v11
	v_lshrrev_b16 v3, 12, v3
	v_mul_lo_u16 v4, v3, 17
	v_mul_u32_u24_sdwa v3, v3, v13 dst_sel:DWORD dst_unused:UNUSED_PAD src0_sel:WORD_0 src1_sel:DWORD
	v_sub_nc_u16 v4, v11, v4
	v_mul_u32_u24_sdwa v6, v4, v6 dst_sel:DWORD dst_unused:UNUSED_PAD src0_sel:BYTE_0 src1_sel:DWORD
	v_lshlrev_b32_sdwa v4, v15, v4 dst_sel:DWORD dst_unused:UNUSED_PAD src0_sel:DWORD src1_sel:BYTE_0
	v_lshlrev_b32_e32 v6, 2, v6
	v_add3_u32 v26, 0, v3, v4
	s_clause 0x2
	global_load_dwordx4 v[16:19], v6, s[8:9]
	global_load_dwordx4 v[20:23], v6, s[8:9] offset:16
	global_load_dwordx4 v[50:53], v6, s[8:9] offset:32
	ds_read_u16 v14, v0
	ds_read_u16 v6, v0 offset:272
	ds_read_u16 v24, v0 offset:544
	;; [unrolled: 1-line block ×12, first 2 shown]
	s_waitcnt vmcnt(0) lgkmcnt(0)
	s_barrier
	buffer_gl0_inv
	v_mul_f16_sdwa v3, v6, v16 dst_sel:DWORD dst_unused:UNUSED_PAD src0_sel:DWORD src1_sel:WORD_1
	v_mul_f16_sdwa v49, v40, v16 dst_sel:DWORD dst_unused:UNUSED_PAD src0_sel:DWORD src1_sel:WORD_1
	;; [unrolled: 1-line block ×5, first 2 shown]
	v_fma_f16 v40, v40, v16, -v3
	v_mul_f16_sdwa v63, v25, v18 dst_sel:DWORD dst_unused:UNUSED_PAD src0_sel:DWORD src1_sel:WORD_1
	v_mul_f16_sdwa v47, v38, v18 dst_sel:DWORD dst_unused:UNUSED_PAD src0_sel:DWORD src1_sel:WORD_1
	;; [unrolled: 1-line block ×11, first 2 shown]
	v_fmac_f16_e32 v49, v6, v16
	v_fma_f16 v39, v39, v17, -v4
	v_fmac_f16_e32 v42, v62, v53
	v_add_f16_e32 v3, v28, v40
	v_mul_f16_sdwa v64, v54, v19 dst_sel:DWORD dst_unused:UNUSED_PAD src0_sel:DWORD src1_sel:WORD_1
	v_mul_f16_sdwa v65, v55, v20 dst_sel:DWORD dst_unused:UNUSED_PAD src0_sel:DWORD src1_sel:WORD_1
	;; [unrolled: 1-line block ×8, first 2 shown]
	v_fmac_f16_e32 v48, v24, v17
	v_fma_f16 v38, v38, v18, -v63
	v_fmac_f16_e32 v47, v25, v18
	v_fmac_f16_e32 v46, v54, v19
	;; [unrolled: 1-line block ×8, first 2 shown]
	v_fma_f16 v31, v31, v53, -v72
	v_fmac_f16_e32 v43, v61, v52
	v_sub_f16_e32 v6, v49, v42
	v_add_f16_e32 v3, v3, v39
	v_fma_f16 v37, v37, v19, -v64
	v_fma_f16 v36, v36, v20, -v65
	;; [unrolled: 1-line block ×8, first 2 shown]
	v_add_f16_e32 v4, v40, v31
	v_sub_f16_e32 v19, v48, v43
	v_sub_f16_e32 v21, v47, v44
	v_sub_f16_e32 v23, v46, v45
	v_sub_f16_e32 v25, v27, v41
	v_sub_f16_e32 v35, v13, v15
	v_mul_f16_e32 v50, 0xb770, v6
	v_mul_f16_e32 v51, 0xb3a8, v6
	v_pk_mul_f16 v61, 0xba95bbf1, v6 op_sel_hi:[1,0]
	v_pk_mul_f16 v6, 0xbb7bb94e, v6 op_sel_hi:[1,0]
	v_add_f16_e32 v3, v3, v38
	v_add_f16_e32 v16, v39, v29
	;; [unrolled: 1-line block ×6, first 2 shown]
	v_mul_f16_e32 v52, 0xba95, v19
	v_mul_f16_e32 v53, 0x3770, v19
	;; [unrolled: 1-line block ×9, first 2 shown]
	v_pk_mul_f16 v62, 0xbb7bb3a8, v19 op_sel_hi:[1,0]
	v_pk_mul_f16 v63, 0xb3a83b7b, v21 op_sel_hi:[1,0]
	;; [unrolled: 1-line block ×10, first 2 shown]
	v_mul_f16_e32 v35, 0x3bf1, v35
	v_fma_f16 v68, v4, 0x3b15, -v50
	v_fmac_f16_e32 v50, 0x3b15, v4
	v_fma_f16 v69, v4, 0xbbc4, -v51
	v_fmac_f16_e32 v51, 0xbbc4, v4
	v_pk_fma_f16 v79, 0x388b2fb7, v4, v61 op_sel_hi:[1,0,1] neg_lo:[0,0,1] neg_hi:[0,0,1]
	v_pk_fma_f16 v61, 0x388b2fb7, v4, v61 op_sel_hi:[1,0,1]
	v_pk_fma_f16 v85, 0xb5acb9fd, v4, v6 op_sel_hi:[1,0,1] neg_lo:[0,0,1] neg_hi:[0,0,1]
	v_pk_fma_f16 v4, 0xb5acb9fd, v4, v6 op_sel_hi:[1,0,1]
	v_add_f16_e32 v3, v3, v37
	v_fma_f16 v70, v16, 0x388b, -v52
	v_fmac_f16_e32 v52, 0x388b, v16
	v_fma_f16 v71, v16, 0x3b15, -v53
	v_fmac_f16_e32 v53, 0x3b15, v16
	;; [unrolled: 2-line block ×9, first 2 shown]
	v_pk_fma_f16 v80, 0xb5acbbc4, v16, v62 op_sel_hi:[1,0,1] neg_lo:[0,0,1] neg_hi:[0,0,1]
	v_pk_fma_f16 v62, 0xb5acbbc4, v16, v62 op_sel_hi:[1,0,1]
	v_pk_fma_f16 v81, 0xbbc4b5ac, v20, v63 op_sel_hi:[1,0,1] neg_lo:[0,0,1] neg_hi:[0,0,1]
	v_pk_fma_f16 v63, 0xbbc4b5ac, v20, v63 op_sel_hi:[1,0,1]
	;; [unrolled: 2-line block ×10, first 2 shown]
	v_fma_f16 v86, v34, 0x2fb7, -v35
	v_fmac_f16_e32 v35, 0x2fb7, v34
	v_add_f16_e32 v34, v28, v68
	v_add_f16_e32 v50, v28, v50
	;; [unrolled: 1-line block ×4, first 2 shown]
	v_add_f16_sdwa v69, v28, v79 dst_sel:DWORD dst_unused:UNUSED_PAD src0_sel:DWORD src1_sel:WORD_1
	v_add_f16_e32 v79, v28, v79
	v_pk_add_f16 v61, v28, v61 op_sel_hi:[0,1]
	v_pk_add_f16 v4, v28, v4 op_sel_hi:[0,1]
	v_add_f16_e32 v3, v3, v36
	v_add_f16_sdwa v87, v28, v85 dst_sel:DWORD dst_unused:UNUSED_PAD src0_sel:DWORD src1_sel:WORD_1
	v_add_f16_e32 v85, v28, v85
	v_add_f16_e32 v28, v70, v34
	;; [unrolled: 1-line block ×5, first 2 shown]
	v_add_f16_sdwa v52, v80, v69 dst_sel:DWORD dst_unused:UNUSED_PAD src0_sel:WORD_1 src1_sel:DWORD
	v_add_f16_e32 v53, v80, v79
	v_pk_add_f16 v61, v62, v61
	v_pk_add_f16 v4, v16, v4
	v_add_f16_e32 v3, v3, v17
	v_add_f16_sdwa v62, v6, v87 dst_sel:DWORD dst_unused:UNUSED_PAD src0_sel:WORD_1 src1_sel:DWORD
	v_add_f16_e32 v16, v72, v28
	v_add_f16_e32 v28, v54, v34
	;; [unrolled: 1-line block ×4, first 2 shown]
	v_add_f16_sdwa v51, v81, v52 dst_sel:DWORD dst_unused:UNUSED_PAD src0_sel:WORD_1 src1_sel:DWORD
	v_add_f16_e32 v52, v81, v53
	v_pk_add_f16 v53, v63, v61
	v_pk_add_f16 v4, v20, v4
	v_add_f16_e32 v3, v3, v18
	v_add_f16_e32 v6, v6, v85
	v_add_f16_sdwa v54, v19, v62 dst_sel:DWORD dst_unused:UNUSED_PAD src0_sel:WORD_1 src1_sel:DWORD
	v_add_f16_e32 v16, v74, v16
	v_add_f16_e32 v20, v75, v34
	v_add_f16_sdwa v34, v82, v51 dst_sel:DWORD dst_unused:UNUSED_PAD src0_sel:WORD_1 src1_sel:DWORD
	v_pk_add_f16 v51, v64, v53
	v_pk_add_f16 v4, v22, v4
	v_add_f16_e32 v3, v3, v33
	v_add_f16_e32 v6, v19, v6
	;; [unrolled: 1-line block ×5, first 2 shown]
	v_add_f16_sdwa v52, v21, v54 dst_sel:DWORD dst_unused:UNUSED_PAD src0_sel:WORD_1 src1_sel:DWORD
	v_add_f16_e32 v16, v76, v16
	v_add_f16_sdwa v22, v83, v34 dst_sel:DWORD dst_unused:UNUSED_PAD src0_sel:WORD_1 src1_sel:DWORD
	v_pk_add_f16 v34, v65, v51
	v_pk_add_f16 v24, v24, v4
	v_add_f16_e32 v51, v3, v32
	v_add_f16_e32 v6, v21, v6
	;; [unrolled: 1-line block ×5, first 2 shown]
	v_add_f16_sdwa v50, v23, v52 dst_sel:DWORD dst_unused:UNUSED_PAD src0_sel:WORD_1 src1_sel:DWORD
	v_add_f16_e32 v16, v78, v16
	v_pk_add_f16 v3, v67, v24
	v_add_f16_e32 v24, v51, v30
	v_add_f16_e32 v23, v23, v6
	;; [unrolled: 1-line block ×3, first 2 shown]
	v_add_f16_sdwa v19, v84, v22 dst_sel:DWORD dst_unused:UNUSED_PAD src0_sel:WORD_1 src1_sel:DWORD
	v_add_f16_e32 v20, v77, v20
	v_add_f16_e32 v22, v84, v28
	v_add_f16_sdwa v28, v25, v50 dst_sel:DWORD dst_unused:UNUSED_PAD src0_sel:WORD_1 src1_sel:DWORD
	ds_write_b16 v26, v16 offset:34
	ds_write_b16 v26, v19 offset:68
	ds_write_b16 v26, v22 offset:102
	ds_write_b16 v26, v28 offset:136
	v_add_f16_e32 v16, v24, v29
	v_add_f16_e32 v23, v25, v23
	v_pk_add_f16 v6, v66, v34
	v_add_f16_e32 v20, v86, v20
	v_add_f16_e32 v21, v35, v21
	;; [unrolled: 1-line block ×3, first 2 shown]
	ds_write_b16 v26, v23 offset:170
	ds_write_b16 v26, v20 offset:204
	;; [unrolled: 1-line block ×4, first 2 shown]
	ds_write_b16_d16_hi v26, v3 offset:306
	ds_write_b16 v26, v6 offset:340
	ds_write_b16_d16_hi v26, v6 offset:374
	ds_write_b16 v26, v4 offset:408
	ds_write_b16 v26, v16
	s_waitcnt lgkmcnt(0)
	s_barrier
	buffer_gl0_inv
	ds_read_u16 v16, v0
	ds_read_u16 v23, v0 offset:442
	ds_read_u16 v19, v0 offset:884
	ds_read_u16 v21, v0 offset:1326
	ds_read_u16 v25, v0 offset:1768
	ds_read_u16 v24, v0 offset:2210
	ds_read_u16 v20, v0 offset:2652
	ds_read_u16 v22, v0 offset:3094
	s_and_saveexec_b32 s1, s0
	s_cbranch_execz .LBB0_17
; %bb.16:
	ds_read_u16 v3, v0 offset:272
	ds_read_u16 v6, v0 offset:1156
	;; [unrolled: 1-line block ×5, first 2 shown]
	s_waitcnt lgkmcnt(4)
	ds_read_u16_d16_hi v3, v0 offset:714
	s_waitcnt lgkmcnt(4)
	ds_read_u16_d16_hi v6, v0 offset:1598
	;; [unrolled: 2-line block ×3, first 2 shown]
.LBB0_17:
	s_or_b32 exec_lo, exec_lo, s1
	v_add_f16_e32 v28, v14, v49
	v_sub_f16_e32 v31, v40, v31
	v_add_f16_e32 v34, v49, v42
	v_sub_f16_e32 v29, v39, v29
	v_sub_f16_e32 v32, v37, v32
	v_add_f16_e32 v28, v28, v48
	v_sub_f16_e32 v33, v36, v33
	v_mul_f16_e32 v36, 0xb770, v31
	v_mul_f16_e32 v37, 0xb3a8, v31
	v_add_f16_e32 v35, v48, v43
	v_add_f16_e32 v28, v28, v47
	v_sub_f16_e32 v30, v38, v30
	v_add_f16_e32 v38, v46, v45
	v_mul_f16_e32 v40, 0xba95, v29
	v_fmamk_f16 v51, v34, 0x3b15, v36
	v_add_f16_e32 v28, v28, v46
	v_mul_f16_e32 v46, 0x3770, v29
	v_fma_f16 v36, v34, 0x3b15, -v36
	v_fmamk_f16 v52, v34, 0xbbc4, v37
	v_add_f16_e32 v39, v47, v44
	v_add_f16_e32 v28, v28, v27
	v_mul_f16_e32 v47, 0xbbf1, v30
	v_mul_f16_e32 v48, 0xb94e, v30
	v_fma_f16 v37, v34, 0xbbc4, -v37
	v_fmamk_f16 v53, v35, 0x388b, v40
	v_add_f16_e32 v28, v28, v13
	v_fma_f16 v40, v35, 0x388b, -v40
	v_fmamk_f16 v54, v35, 0x3b15, v46
	v_add_f16_e32 v51, v14, v51
	v_add_f16_e32 v36, v14, v36
	;; [unrolled: 1-line block ×3, first 2 shown]
	v_mul_f16_e32 v49, 0xbb7b, v32
	v_mul_f16_e32 v50, 0x3a95, v32
	v_fma_f16 v46, v35, 0x3b15, -v46
	v_fmamk_f16 v55, v39, 0x2fb7, v47
	v_add_f16_e32 v28, v28, v41
	v_fma_f16 v47, v39, 0x2fb7, -v47
	v_fmamk_f16 v56, v39, 0xb9fd, v48
	v_add_f16_e32 v37, v14, v37
	v_add_f16_e32 v51, v53, v51
	;; [unrolled: 1-line block ×5, first 2 shown]
	v_fma_f16 v48, v39, 0xb9fd, -v48
	v_fmamk_f16 v57, v38, 0xb5ac, v49
	v_add_f16_e32 v28, v28, v44
	v_add_f16_e32 v40, v54, v45
	v_fma_f16 v49, v38, 0xb5ac, -v49
	v_add_f16_e32 v37, v46, v37
	v_add_f16_e32 v44, v55, v51
	;; [unrolled: 1-line block ×6, first 2 shown]
	v_mul_f16_e32 v41, 0xb94e, v33
	v_add_f16_e32 v28, v28, v42
	v_fmamk_f16 v42, v38, 0x388b, v50
	v_add_f16_e32 v37, v48, v37
	v_add_f16_e32 v43, v57, v44
	v_fma_f16 v44, v38, 0x388b, -v50
	v_add_f16_e32 v36, v49, v36
	v_mul_f16_e32 v45, 0xbb7b, v33
	v_add_f16_e32 v40, v42, v40
	v_fmamk_f16 v42, v27, 0xb9fd, v41
	v_fma_f16 v41, v27, 0xb9fd, -v41
	v_pk_mul_f16 v46, 0xba95bbf1, v31 op_sel_hi:[1,0]
	v_add_f16_e32 v37, v44, v37
	v_fmamk_f16 v44, v27, 0xb5ac, v45
	v_add_f16_e32 v42, v42, v43
	v_add_f16_e32 v36, v41, v36
	v_pk_fma_f16 v41, 0x388b2fb7, v34, v46 op_sel_hi:[1,0,1]
	v_pk_mul_f16 v43, 0xbb7bb3a8, v29 op_sel_hi:[1,0]
	v_fma_f16 v45, v27, 0xb5ac, -v45
	v_add_f16_e32 v40, v44, v40
	v_sub_f16_e32 v17, v17, v18
	v_add_f16_e32 v15, v13, v15
	v_add_f16_sdwa v13, v14, v41 dst_sel:DWORD dst_unused:UNUSED_PAD src0_sel:DWORD src1_sel:WORD_1
	v_pk_fma_f16 v18, 0x388b2fb7, v34, v46 op_sel_hi:[1,0,1] neg_lo:[0,0,1] neg_hi:[0,0,1]
	v_pk_fma_f16 v44, 0xb5acbbc4, v35, v43 op_sel_hi:[1,0,1]
	v_pk_mul_f16 v46, 0xb3a83b7b, v30 op_sel_hi:[1,0]
	v_add_f16_e32 v37, v45, v37
	v_mul_f16_e32 v45, 0xb3a8, v17
	v_add_f16_e32 v41, v14, v41
	v_pk_add_f16 v18, v14, v18 op_sel_hi:[0,1]
	v_add_f16_sdwa v13, v44, v13 dst_sel:DWORD dst_unused:UNUSED_PAD src0_sel:WORD_1 src1_sel:DWORD
	v_pk_fma_f16 v43, 0xb5acbbc4, v35, v43 op_sel_hi:[1,0,1] neg_lo:[0,0,1] neg_hi:[0,0,1]
	v_pk_fma_f16 v47, 0xbbc4b5ac, v39, v46 op_sel_hi:[1,0,1]
	v_pk_mul_f16 v49, 0x394e3770, v32 op_sel_hi:[1,0]
	v_fmamk_f16 v48, v15, 0xbbc4, v45
	v_add_f16_e32 v41, v44, v41
	v_pk_add_f16 v18, v43, v18
	v_add_f16_sdwa v13, v47, v13 dst_sel:DWORD dst_unused:UNUSED_PAD src0_sel:WORD_1 src1_sel:DWORD
	v_pk_fma_f16 v43, 0xbbc4b5ac, v39, v46 op_sel_hi:[1,0,1] neg_lo:[0,0,1] neg_hi:[0,0,1]
	v_pk_fma_f16 v44, 0xb9fd3b15, v38, v49 op_sel_hi:[1,0,1]
	v_pk_mul_f16 v46, 0x3bf1ba95, v33 op_sel_hi:[1,0]
	v_add_f16_e32 v42, v48, v42
	v_add_f16_e32 v41, v47, v41
	v_pk_add_f16 v18, v43, v18
	v_add_f16_sdwa v13, v44, v13 dst_sel:DWORD dst_unused:UNUSED_PAD src0_sel:WORD_1 src1_sel:DWORD
	v_pk_fma_f16 v43, 0xb9fd3b15, v38, v49 op_sel_hi:[1,0,1] neg_lo:[0,0,1] neg_hi:[0,0,1]
	v_pk_fma_f16 v47, 0x2fb7388b, v27, v46 op_sel_hi:[1,0,1]
	v_pk_mul_f16 v48, 0x3770b94e, v17 op_sel_hi:[1,0]
	v_fma_f16 v45, v15, 0xbbc4, -v45
	v_add_f16_e32 v41, v44, v41
	v_pk_add_f16 v18, v43, v18
	v_add_f16_sdwa v43, v47, v13 dst_sel:DWORD dst_unused:UNUSED_PAD src0_sel:WORD_1 src1_sel:DWORD
	v_pk_fma_f16 v44, 0x2fb7388b, v27, v46 op_sel_hi:[1,0,1] neg_lo:[0,0,1] neg_hi:[0,0,1]
	v_pk_fma_f16 v46, 0x3b15b9fd, v15, v48 op_sel_hi:[1,0,1]
	v_pk_mul_f16 v31, 0xbb7bb94e, v31 op_sel_hi:[1,0]
	v_add_f16_e32 v13, v45, v36
	v_add_f16_e32 v36, v47, v41
	v_pk_mul_f16 v29, 0x394e3bf1, v29 op_sel_hi:[1,0]
	v_add_f16_sdwa v41, v46, v43 dst_sel:DWORD dst_unused:UNUSED_PAD src0_sel:WORD_1 src1_sel:DWORD
	v_pk_fma_f16 v43, 0xb5acb9fd, v34, v31 op_sel_hi:[1,0,1]
	v_pk_fma_f16 v31, 0xb5acb9fd, v34, v31 op_sel_hi:[1,0,1] neg_lo:[0,0,1] neg_hi:[0,0,1]
	v_pk_mul_f16 v30, 0x3770ba95, v30 op_sel_hi:[1,0]
	v_pk_fma_f16 v45, 0xb9fd2fb7, v35, v29 op_sel_hi:[1,0,1]
	v_pk_fma_f16 v29, 0xb9fd2fb7, v35, v29 op_sel_hi:[1,0,1] neg_lo:[0,0,1] neg_hi:[0,0,1]
	v_add_f16_sdwa v34, v14, v43 dst_sel:DWORD dst_unused:UNUSED_PAD src0_sel:DWORD src1_sel:WORD_1
	v_add_f16_e32 v43, v14, v43
	v_pk_add_f16 v14, v14, v31 op_sel_hi:[0,1]
	v_pk_mul_f16 v32, 0xbbf133a8, v32 op_sel_hi:[1,0]
	v_pk_add_f16 v18, v44, v18
	v_add_f16_sdwa v31, v45, v34 dst_sel:DWORD dst_unused:UNUSED_PAD src0_sel:WORD_1 src1_sel:DWORD
	v_pk_fma_f16 v34, 0x3b15388b, v39, v30 op_sel_hi:[1,0,1]
	v_add_f16_e32 v35, v45, v43
	v_pk_add_f16 v14, v29, v14
	v_pk_fma_f16 v29, 0x3b15388b, v39, v30 op_sel_hi:[1,0,1] neg_lo:[0,0,1] neg_hi:[0,0,1]
	v_pk_fma_f16 v44, 0x3b15b9fd, v15, v48 op_sel_hi:[1,0,1] neg_lo:[0,0,1] neg_hi:[0,0,1]
	v_add_f16_sdwa v30, v34, v31 dst_sel:DWORD dst_unused:UNUSED_PAD src0_sel:WORD_1 src1_sel:DWORD
	v_add_f16_e32 v31, v34, v35
	v_pk_fma_f16 v34, 0x2fb7bbc4, v38, v32 op_sel_hi:[1,0,1]
	v_pk_mul_f16 v33, 0x33a83770, v33 op_sel_hi:[1,0]
	v_pk_add_f16 v29, v29, v14
	v_pk_fma_f16 v32, 0x2fb7bbc4, v38, v32 op_sel_hi:[1,0,1] neg_lo:[0,0,1] neg_hi:[0,0,1]
	v_pk_add_f16 v14, v44, v18
	v_add_f16_sdwa v18, v34, v30 dst_sel:DWORD dst_unused:UNUSED_PAD src0_sel:WORD_1 src1_sel:DWORD
	v_pk_fma_f16 v30, 0xbbc43b15, v27, v33 op_sel_hi:[1,0,1]
	v_pk_fma_f16 v27, 0xbbc43b15, v27, v33 op_sel_hi:[1,0,1] neg_lo:[0,0,1] neg_hi:[0,0,1]
	v_pk_add_f16 v29, v32, v29
	v_pk_mul_f16 v32, 0x3a95bb7b, v17 op_sel_hi:[1,0]
	v_add_f16_e32 v31, v34, v31
	v_mul_f16_e32 v17, 0x3bf1, v17
	v_add_f16_sdwa v18, v30, v18 dst_sel:DWORD dst_unused:UNUSED_PAD src0_sel:WORD_1 src1_sel:DWORD
	v_pk_add_f16 v27, v27, v29
	v_pk_fma_f16 v29, 0x388bb5ac, v15, v32 op_sel_hi:[1,0,1] neg_lo:[0,0,1] neg_hi:[0,0,1]
	v_add_f16_e32 v30, v30, v31
	v_pk_fma_f16 v31, 0x388bb5ac, v15, v32 op_sel_hi:[1,0,1]
	v_fmamk_f16 v32, v15, 0x2fb7, v17
	v_fma_f16 v17, v15, 0x2fb7, -v17
	v_pk_add_f16 v15, v29, v27
	v_add_f16_e32 v36, v46, v36
	v_add_f16_sdwa v18, v31, v18 dst_sel:DWORD dst_unused:UNUSED_PAD src0_sel:WORD_1 src1_sel:DWORD
	v_add_f16_e32 v27, v32, v40
	v_add_f16_e32 v29, v17, v37
	v_lshrrev_b32_e32 v17, 16, v15
	v_add_f16_e32 v30, v31, v30
	s_waitcnt lgkmcnt(0)
	s_barrier
	buffer_gl0_inv
	ds_write_b16 v26, v28
	ds_write_b16 v26, v42 offset:34
	ds_write_b16 v26, v41 offset:68
	;; [unrolled: 1-line block ×5, first 2 shown]
	v_lshrrev_b32_e32 v18, 16, v14
	ds_write_b16 v26, v27 offset:204
	ds_write_b16 v26, v29 offset:238
	;; [unrolled: 1-line block ×7, first 2 shown]
	s_waitcnt lgkmcnt(0)
	s_barrier
	buffer_gl0_inv
	ds_read_u16 v26, v0
	ds_read_u16 v28, v0 offset:442
	ds_read_u16 v31, v0 offset:884
	;; [unrolled: 1-line block ×7, first 2 shown]
	v_lshrrev_b32_e32 v1, 16, v1
	s_and_saveexec_b32 s1, s0
	s_cbranch_execz .LBB0_19
; %bb.18:
	ds_read_u16 v5, v0 offset:2482
	ds_read_u16 v15, v0 offset:272
	;; [unrolled: 1-line block ×7, first 2 shown]
	s_waitcnt lgkmcnt(6)
	ds_read_u16_d16_hi v5, v0 offset:2924
.LBB0_19:
	s_or_b32 exec_lo, exec_lo, s1
	s_and_saveexec_b32 s1, vcc_lo
	s_cbranch_execz .LBB0_22
; %bb.20:
	v_mul_u32_u24_e32 v0, 7, v11
	v_mad_u64_u32 v[41:42], null, s2, v11, 0
	v_add_nc_u32_e32 v59, 0xdd, v11
	v_add_nc_u32_e32 v60, 0x1ba, v11
	v_lshlrev_b32_e32 v0, 2, v0
	v_add_nc_u32_e32 v61, 0x297, v11
	v_mul_lo_u32 v55, s5, v9
	v_mul_lo_u32 v56, s4, v10
	v_mad_u64_u32 v[9:10], null, s4, v9, 0
	s_clause 0x1
	global_load_dwordx4 v[34:37], v0, s[8:9] offset:816
	global_load_dwordx3 v[38:40], v0, s[8:9] offset:832
	v_add_nc_u32_e32 v62, 0x374, v11
	v_add_nc_u32_e32 v63, 0x451, v11
	;; [unrolled: 1-line block ×3, first 2 shown]
	v_mad_u64_u32 v[43:44], null, s2, v59, 0
	v_add_nc_u32_e32 v65, 0x60b, v11
	v_mad_u64_u32 v[45:46], null, s2, v60, 0
	v_mad_u64_u32 v[47:48], null, s2, v61, 0
	;; [unrolled: 1-line block ×3, first 2 shown]
	v_mov_b32_e32 v0, v42
	v_mad_u64_u32 v[51:52], null, s2, v63, 0
	v_mad_u64_u32 v[53:54], null, s2, v64, 0
	v_add3_u32 v10, v10, v56, v55
	v_mad_u64_u32 v[55:56], null, s2, v65, 0
	s_waitcnt lgkmcnt(1)
	v_mad_u64_u32 v[57:58], null, s3, v11, v[0:1]
	v_mov_b32_e32 v0, v44
	v_mov_b32_e32 v42, v46
	;; [unrolled: 1-line block ×6, first 2 shown]
	v_mad_u64_u32 v[58:59], null, s3, v59, v[0:1]
	v_mov_b32_e32 v52, v56
	v_mad_u64_u32 v[59:60], null, s3, v60, v[42:43]
	v_mad_u64_u32 v[60:61], null, s3, v61, v[44:45]
	;; [unrolled: 1-line block ×5, first 2 shown]
	v_lshlrev_b64 v[9:10], 2, v[9:10]
	v_mad_u64_u32 v[64:65], null, s3, v65, v[52:53]
	v_lshlrev_b64 v[7:8], 2, v[7:8]
	v_mov_b32_e32 v42, v57
	v_mov_b32_e32 v44, v58
	v_add_co_u32 v0, vcc_lo, s14, v9
	v_add_co_ci_u32_e32 v9, vcc_lo, s15, v10, vcc_lo
	v_mov_b32_e32 v46, v59
	v_mov_b32_e32 v48, v60
	;; [unrolled: 1-line block ×6, first 2 shown]
	v_add_co_u32 v0, vcc_lo, v0, v7
	v_add_co_ci_u32_e32 v7, vcc_lo, v9, v8, vcc_lo
	v_lshlrev_b64 v[8:9], 2, v[41:42]
	v_lshlrev_b64 v[41:42], 2, v[43:44]
	;; [unrolled: 1-line block ×8, first 2 shown]
	v_add_co_u32 v8, vcc_lo, v0, v8
	v_add_co_ci_u32_e32 v9, vcc_lo, v7, v9, vcc_lo
	v_add_co_u32 v41, vcc_lo, v0, v41
	v_add_co_ci_u32_e32 v42, vcc_lo, v7, v42, vcc_lo
	;; [unrolled: 2-line block ×7, first 2 shown]
	s_waitcnt vmcnt(1)
	v_mul_f16_sdwa v10, v27, v37 dst_sel:DWORD dst_unused:UNUSED_PAD src0_sel:DWORD src1_sel:WORD_1
	v_mul_f16_sdwa v55, v19, v35 dst_sel:DWORD dst_unused:UNUSED_PAD src0_sel:DWORD src1_sel:WORD_1
	s_waitcnt vmcnt(0)
	v_mul_f16_sdwa v56, v20, v39 dst_sel:DWORD dst_unused:UNUSED_PAD src0_sel:DWORD src1_sel:WORD_1
	v_mul_f16_sdwa v57, v28, v34 dst_sel:DWORD dst_unused:UNUSED_PAD src0_sel:DWORD src1_sel:WORD_1
	;; [unrolled: 1-line block ×8, first 2 shown]
	s_waitcnt lgkmcnt(0)
	v_mul_f16_sdwa v64, v32, v40 dst_sel:DWORD dst_unused:UNUSED_PAD src0_sel:DWORD src1_sel:WORD_1
	v_mul_f16_sdwa v65, v25, v37 dst_sel:DWORD dst_unused:UNUSED_PAD src0_sel:DWORD src1_sel:WORD_1
	;; [unrolled: 1-line block ×4, first 2 shown]
	v_fma_f16 v10, v25, v37, -v10
	v_fmac_f16_e32 v55, v31, v35
	v_fmac_f16_e32 v56, v33, v39
	v_fma_f16 v23, v23, v34, -v57
	v_fma_f16 v24, v24, v38, -v58
	v_fmac_f16_e32 v59, v30, v36
	v_fmac_f16_e32 v60, v32, v40
	;; [unrolled: 1-line block ×4, first 2 shown]
	v_fma_f16 v21, v21, v36, -v63
	v_fma_f16 v22, v22, v40, -v64
	v_fmac_f16_e32 v65, v27, v37
	v_fma_f16 v25, v19, v35, -v66
	v_fma_f16 v19, v20, v39, -v67
	v_sub_f16_e32 v10, v16, v10
	v_sub_f16_e32 v27, v55, v56
	;; [unrolled: 1-line block ×10, first 2 shown]
	v_add_f16_e32 v34, v29, v22
	v_fma_f16 v16, v16, 2.0, -v10
	v_add_f16_e32 v35, v30, v31
	v_fma_f16 v25, v25, 2.0, -v31
	v_fma_f16 v31, v61, 2.0, -v29
	;; [unrolled: 1-line block ×7, first 2 shown]
	v_fmamk_f16 v22, v33, 0x39a8, v32
	v_sub_f16_e32 v25, v16, v25
	v_sub_f16_e32 v28, v31, v28
	v_sub_f16_e32 v27, v26, v27
	v_sub_f16_e32 v21, v23, v21
	v_fma_f16 v29, v29, 2.0, -v34
	v_fma_f16 v30, v30, 2.0, -v35
	;; [unrolled: 1-line block ×4, first 2 shown]
	v_fmamk_f16 v36, v34, 0x39a8, v35
	v_fmac_f16_e32 v22, 0xb9a8, v34
	v_add_f16_e32 v34, v27, v21
	v_fmamk_f16 v38, v29, 0xb9a8, v30
	v_fma_f16 v16, v16, 2.0, -v25
	v_fma_f16 v21, v23, 2.0, -v21
	v_fma_f16 v23, v26, 2.0, -v27
	v_fma_f16 v26, v31, 2.0, -v28
	v_fmamk_f16 v37, v24, 0xb9a8, v10
	v_fmac_f16_e32 v38, 0x39a8, v24
	v_sub_f16_e32 v21, v16, v21
	v_fmac_f16_e32 v36, 0x39a8, v33
	v_sub_f16_e32 v24, v23, v26
	;; [unrolled: 2-line block ×3, first 2 shown]
	v_fma_f16 v16, v16, 2.0, -v21
	v_fma_f16 v26, v27, 2.0, -v34
	;; [unrolled: 1-line block ×8, first 2 shown]
	v_pack_b32_f16 v16, v16, v23
	v_pack_b32_f16 v10, v10, v27
	;; [unrolled: 1-line block ×3, first 2 shown]
	v_add_co_u32 v19, vcc_lo, v0, v53
	v_pack_b32_f16 v23, v28, v31
	v_pack_b32_f16 v21, v21, v24
	v_add_co_ci_u32_e32 v20, vcc_lo, v7, v54, vcc_lo
	v_pack_b32_f16 v29, v33, v34
	v_pack_b32_f16 v22, v22, v36
	;; [unrolled: 1-line block ×3, first 2 shown]
	global_store_dword v[8:9], v16, off
	global_store_dword v[41:42], v10, off
	;; [unrolled: 1-line block ×8, first 2 shown]
	s_and_b32 exec_lo, exec_lo, s0
	s_cbranch_execz .LBB0_22
; %bb.21:
	v_add_nc_u32_e32 v39, 0x88, v11
	v_add_nc_u32_e32 v8, 0xffffffab, v11
	v_mov_b32_e32 v9, 0
	v_add_nc_u32_e32 v40, 0x165, v11
	v_add_nc_u32_e32 v42, 0x31f, v11
	;; [unrolled: 1-line block ×3, first 2 shown]
	v_cndmask_b32_e64 v8, v8, v39, s0
	v_add_nc_u32_e32 v46, 0x693, v11
	v_mad_u64_u32 v[23:24], null, s2, v39, 0
	v_add_nc_u32_e32 v41, 0x242, v11
	v_mul_i32_i24_e32 v8, 7, v8
	v_mad_u64_u32 v[25:26], null, s2, v40, 0
	v_mad_u64_u32 v[29:30], null, s2, v42, 0
	v_lshlrev_b64 v[8:9], 2, v[8:9]
	v_mad_u64_u32 v[33:34], null, s2, v44, 0
	v_mad_u64_u32 v[37:38], null, s2, v46, 0
	;; [unrolled: 1-line block ×3, first 2 shown]
	v_add_co_u32 v8, vcc_lo, s8, v8
	v_add_co_ci_u32_e32 v9, vcc_lo, s9, v9, vcc_lo
	v_add_nc_u32_e32 v43, 0x3fc, v11
	s_clause 0x1
	global_load_dwordx4 v[19:22], v[8:9], off offset:816
	global_load_dwordx3 v[8:10], v[8:9], off offset:832
	v_add_nc_u32_e32 v45, 0x5b6, v11
	v_mov_b32_e32 v11, v24
	v_mov_b32_e32 v16, v26
	v_mad_u64_u32 v[31:32], null, s2, v43, 0
	v_mov_b32_e32 v26, v30
	v_mov_b32_e32 v30, v34
	;; [unrolled: 1-line block ×3, first 2 shown]
	v_mad_u64_u32 v[38:39], null, s3, v39, v[11:12]
	v_mov_b32_e32 v24, v28
	v_mad_u64_u32 v[39:40], null, s3, v40, v[16:17]
	v_mad_u64_u32 v[35:36], null, s2, v45, 0
	;; [unrolled: 1-line block ×3, first 2 shown]
	v_mov_b32_e32 v28, v32
	v_mov_b32_e32 v24, v38
	v_mad_u64_u32 v[41:42], null, s3, v42, v[26:27]
	v_mov_b32_e32 v26, v39
	v_mad_u64_u32 v[42:43], null, s3, v43, v[28:29]
	v_mov_b32_e32 v32, v36
	v_lshlrev_b64 v[23:24], 2, v[23:24]
	v_mov_b32_e32 v28, v40
	v_mad_u64_u32 v[43:44], null, s3, v44, v[30:31]
	v_lshlrev_b64 v[25:26], 2, v[25:26]
	v_mov_b32_e32 v30, v41
	v_mad_u64_u32 v[44:45], null, s3, v45, v[32:33]
	v_lshlrev_b64 v[27:28], 2, v[27:28]
	v_add_co_u32 v23, vcc_lo, v0, v23
	v_mov_b32_e32 v32, v42
	v_mad_u64_u32 v[45:46], null, s3, v46, v[34:35]
	v_add_co_ci_u32_e32 v24, vcc_lo, v7, v24, vcc_lo
	v_lshlrev_b64 v[29:30], 2, v[29:30]
	v_add_co_u32 v25, vcc_lo, v0, v25
	v_mov_b32_e32 v34, v43
	v_add_co_ci_u32_e32 v26, vcc_lo, v7, v26, vcc_lo
	v_lshlrev_b64 v[31:32], 2, v[31:32]
	v_add_co_u32 v27, vcc_lo, v0, v27
	v_mov_b32_e32 v36, v44
	;; [unrolled: 4-line block ×3, first 2 shown]
	v_add_co_ci_u32_e32 v30, vcc_lo, v7, v30, vcc_lo
	v_lshlrev_b64 v[35:36], 2, v[35:36]
	v_add_co_u32 v31, vcc_lo, v0, v31
	v_add_co_ci_u32_e32 v32, vcc_lo, v7, v32, vcc_lo
	v_lshlrev_b64 v[37:38], 2, v[37:38]
	v_add_co_u32 v33, vcc_lo, v0, v33
	v_add_co_ci_u32_e32 v34, vcc_lo, v7, v34, vcc_lo
	v_lshrrev_b32_e32 v47, 16, v3
	v_lshrrev_b32_e32 v48, 16, v6
	;; [unrolled: 1-line block ×4, first 2 shown]
	v_add_co_u32 v35, vcc_lo, v0, v35
	v_add_co_ci_u32_e32 v36, vcc_lo, v7, v36, vcc_lo
	v_add_co_u32 v37, vcc_lo, v0, v37
	v_add_co_ci_u32_e32 v38, vcc_lo, v7, v38, vcc_lo
	s_waitcnt vmcnt(1)
	v_mul_f16_sdwa v0, v17, v19 dst_sel:DWORD dst_unused:UNUSED_PAD src0_sel:DWORD src1_sel:WORD_1
	v_mul_f16_sdwa v7, v47, v19 dst_sel:DWORD dst_unused:UNUSED_PAD src0_sel:DWORD src1_sel:WORD_1
	;; [unrolled: 1-line block ×8, first 2 shown]
	s_waitcnt vmcnt(0)
	v_mul_f16_sdwa v43, v5, v8 dst_sel:DWORD dst_unused:UNUSED_PAD src0_sel:DWORD src1_sel:WORD_1
	v_mul_f16_sdwa v44, v2, v8 dst_sel:DWORD dst_unused:UNUSED_PAD src0_sel:DWORD src1_sel:WORD_1
	;; [unrolled: 1-line block ×6, first 2 shown]
	v_fma_f16 v0, v47, v19, -v0
	v_fmac_f16_e32 v7, v17, v19
	v_fma_f16 v6, v6, v20, -v11
	v_fmac_f16_e32 v16, v14, v20
	;; [unrolled: 2-line block ×7, first 2 shown]
	v_sub_f16_e32 v1, v3, v4
	v_sub_f16_e32 v4, v15, v42
	;; [unrolled: 1-line block ×8, first 2 shown]
	v_fma_f16 v3, v3, 2.0, -v1
	v_fma_f16 v13, v15, 2.0, -v4
	;; [unrolled: 1-line block ×8, first 2 shown]
	v_sub_f16_e32 v9, v1, v9
	v_add_f16_e32 v5, v4, v5
	v_sub_f16_e32 v12, v2, v12
	v_add_f16_e32 v8, v10, v8
	v_sub_f16_e32 v6, v3, v6
	v_sub_f16_e32 v14, v13, v14
	;; [unrolled: 1-line block ×4, first 2 shown]
	v_fma_f16 v1, v1, 2.0, -v9
	v_fma_f16 v4, v4, 2.0, -v5
	;; [unrolled: 1-line block ×4, first 2 shown]
	v_fmamk_f16 v16, v12, 0x39a8, v9
	v_fma_f16 v3, v3, 2.0, -v6
	v_fma_f16 v13, v13, 2.0, -v14
	;; [unrolled: 1-line block ×4, first 2 shown]
	v_fmamk_f16 v18, v2, 0xb9a8, v1
	v_fmamk_f16 v19, v10, 0xb9a8, v4
	;; [unrolled: 1-line block ×3, first 2 shown]
	v_fmac_f16_e32 v16, 0xb9a8, v8
	v_sub_f16_e32 v0, v3, v0
	v_sub_f16_e32 v7, v13, v7
	v_fmac_f16_e32 v18, 0xb9a8, v10
	v_fmac_f16_e32 v19, 0x39a8, v2
	v_sub_f16_e32 v15, v6, v15
	v_add_f16_e32 v11, v14, v11
	v_fmac_f16_e32 v17, 0x39a8, v12
	v_fma_f16 v8, v9, 2.0, -v16
	v_fma_f16 v3, v3, 2.0, -v0
	;; [unrolled: 1-line block ×8, first 2 shown]
	v_pack_b32_f16 v3, v3, v9
	v_pack_b32_f16 v1, v1, v4
	;; [unrolled: 1-line block ×8, first 2 shown]
	global_store_dword v[23:24], v3, off
	global_store_dword v[25:26], v1, off
	;; [unrolled: 1-line block ×8, first 2 shown]
.LBB0_22:
	s_endpgm
	.section	.rodata,"a",@progbits
	.p2align	6, 0x0
	.amdhsa_kernel fft_rtc_fwd_len1768_factors_17_13_8_wgs_136_tpt_136_halfLds_half_op_CI_CI_sbrr_dirReg
		.amdhsa_group_segment_fixed_size 0
		.amdhsa_private_segment_fixed_size 0
		.amdhsa_kernarg_size 104
		.amdhsa_user_sgpr_count 6
		.amdhsa_user_sgpr_private_segment_buffer 1
		.amdhsa_user_sgpr_dispatch_ptr 0
		.amdhsa_user_sgpr_queue_ptr 0
		.amdhsa_user_sgpr_kernarg_segment_ptr 1
		.amdhsa_user_sgpr_dispatch_id 0
		.amdhsa_user_sgpr_flat_scratch_init 0
		.amdhsa_user_sgpr_private_segment_size 0
		.amdhsa_wavefront_size32 1
		.amdhsa_uses_dynamic_stack 0
		.amdhsa_system_sgpr_private_segment_wavefront_offset 0
		.amdhsa_system_sgpr_workgroup_id_x 1
		.amdhsa_system_sgpr_workgroup_id_y 0
		.amdhsa_system_sgpr_workgroup_id_z 0
		.amdhsa_system_sgpr_workgroup_info 0
		.amdhsa_system_vgpr_workitem_id 0
		.amdhsa_next_free_vgpr 96
		.amdhsa_next_free_sgpr 31
		.amdhsa_reserve_vcc 1
		.amdhsa_reserve_flat_scratch 0
		.amdhsa_float_round_mode_32 0
		.amdhsa_float_round_mode_16_64 0
		.amdhsa_float_denorm_mode_32 3
		.amdhsa_float_denorm_mode_16_64 3
		.amdhsa_dx10_clamp 1
		.amdhsa_ieee_mode 1
		.amdhsa_fp16_overflow 0
		.amdhsa_workgroup_processor_mode 1
		.amdhsa_memory_ordered 1
		.amdhsa_forward_progress 0
		.amdhsa_shared_vgpr_count 0
		.amdhsa_exception_fp_ieee_invalid_op 0
		.amdhsa_exception_fp_denorm_src 0
		.amdhsa_exception_fp_ieee_div_zero 0
		.amdhsa_exception_fp_ieee_overflow 0
		.amdhsa_exception_fp_ieee_underflow 0
		.amdhsa_exception_fp_ieee_inexact 0
		.amdhsa_exception_int_div_zero 0
	.end_amdhsa_kernel
	.text
.Lfunc_end0:
	.size	fft_rtc_fwd_len1768_factors_17_13_8_wgs_136_tpt_136_halfLds_half_op_CI_CI_sbrr_dirReg, .Lfunc_end0-fft_rtc_fwd_len1768_factors_17_13_8_wgs_136_tpt_136_halfLds_half_op_CI_CI_sbrr_dirReg
                                        ; -- End function
	.section	.AMDGPU.csdata,"",@progbits
; Kernel info:
; codeLenInByte = 13180
; NumSgprs: 33
; NumVgprs: 96
; ScratchSize: 0
; MemoryBound: 0
; FloatMode: 240
; IeeeMode: 1
; LDSByteSize: 0 bytes/workgroup (compile time only)
; SGPRBlocks: 4
; VGPRBlocks: 11
; NumSGPRsForWavesPerEU: 33
; NumVGPRsForWavesPerEU: 96
; Occupancy: 10
; WaveLimiterHint : 1
; COMPUTE_PGM_RSRC2:SCRATCH_EN: 0
; COMPUTE_PGM_RSRC2:USER_SGPR: 6
; COMPUTE_PGM_RSRC2:TRAP_HANDLER: 0
; COMPUTE_PGM_RSRC2:TGID_X_EN: 1
; COMPUTE_PGM_RSRC2:TGID_Y_EN: 0
; COMPUTE_PGM_RSRC2:TGID_Z_EN: 0
; COMPUTE_PGM_RSRC2:TIDIG_COMP_CNT: 0
	.text
	.p2alignl 6, 3214868480
	.fill 48, 4, 3214868480
	.type	__hip_cuid_5756413e8109d7bd,@object ; @__hip_cuid_5756413e8109d7bd
	.section	.bss,"aw",@nobits
	.globl	__hip_cuid_5756413e8109d7bd
__hip_cuid_5756413e8109d7bd:
	.byte	0                               ; 0x0
	.size	__hip_cuid_5756413e8109d7bd, 1

	.ident	"AMD clang version 19.0.0git (https://github.com/RadeonOpenCompute/llvm-project roc-6.4.0 25133 c7fe45cf4b819c5991fe208aaa96edf142730f1d)"
	.section	".note.GNU-stack","",@progbits
	.addrsig
	.addrsig_sym __hip_cuid_5756413e8109d7bd
	.amdgpu_metadata
---
amdhsa.kernels:
  - .args:
      - .actual_access:  read_only
        .address_space:  global
        .offset:         0
        .size:           8
        .value_kind:     global_buffer
      - .offset:         8
        .size:           8
        .value_kind:     by_value
      - .actual_access:  read_only
        .address_space:  global
        .offset:         16
        .size:           8
        .value_kind:     global_buffer
      - .actual_access:  read_only
        .address_space:  global
        .offset:         24
        .size:           8
        .value_kind:     global_buffer
      - .actual_access:  read_only
        .address_space:  global
        .offset:         32
        .size:           8
        .value_kind:     global_buffer
      - .offset:         40
        .size:           8
        .value_kind:     by_value
      - .actual_access:  read_only
        .address_space:  global
        .offset:         48
        .size:           8
        .value_kind:     global_buffer
      - .actual_access:  read_only
        .address_space:  global
        .offset:         56
        .size:           8
        .value_kind:     global_buffer
      - .offset:         64
        .size:           4
        .value_kind:     by_value
      - .actual_access:  read_only
        .address_space:  global
        .offset:         72
        .size:           8
        .value_kind:     global_buffer
      - .actual_access:  read_only
        .address_space:  global
        .offset:         80
        .size:           8
        .value_kind:     global_buffer
      - .actual_access:  read_only
        .address_space:  global
        .offset:         88
        .size:           8
        .value_kind:     global_buffer
      - .actual_access:  write_only
        .address_space:  global
        .offset:         96
        .size:           8
        .value_kind:     global_buffer
    .group_segment_fixed_size: 0
    .kernarg_segment_align: 8
    .kernarg_segment_size: 104
    .language:       OpenCL C
    .language_version:
      - 2
      - 0
    .max_flat_workgroup_size: 136
    .name:           fft_rtc_fwd_len1768_factors_17_13_8_wgs_136_tpt_136_halfLds_half_op_CI_CI_sbrr_dirReg
    .private_segment_fixed_size: 0
    .sgpr_count:     33
    .sgpr_spill_count: 0
    .symbol:         fft_rtc_fwd_len1768_factors_17_13_8_wgs_136_tpt_136_halfLds_half_op_CI_CI_sbrr_dirReg.kd
    .uniform_work_group_size: 1
    .uses_dynamic_stack: false
    .vgpr_count:     96
    .vgpr_spill_count: 0
    .wavefront_size: 32
    .workgroup_processor_mode: 1
amdhsa.target:   amdgcn-amd-amdhsa--gfx1030
amdhsa.version:
  - 1
  - 2
...

	.end_amdgpu_metadata
